;; amdgpu-corpus repo=ROCm/rocFFT kind=compiled arch=gfx1201 opt=O3
	.text
	.amdgcn_target "amdgcn-amd-amdhsa--gfx1201"
	.amdhsa_code_object_version 6
	.protected	fft_rtc_back_len3200_factors_10_10_4_4_2_wgs_160_tpt_160_halfLds_dp_ip_CI_unitstride_sbrr_dirReg ; -- Begin function fft_rtc_back_len3200_factors_10_10_4_4_2_wgs_160_tpt_160_halfLds_dp_ip_CI_unitstride_sbrr_dirReg
	.globl	fft_rtc_back_len3200_factors_10_10_4_4_2_wgs_160_tpt_160_halfLds_dp_ip_CI_unitstride_sbrr_dirReg
	.p2align	8
	.type	fft_rtc_back_len3200_factors_10_10_4_4_2_wgs_160_tpt_160_halfLds_dp_ip_CI_unitstride_sbrr_dirReg,@function
fft_rtc_back_len3200_factors_10_10_4_4_2_wgs_160_tpt_160_halfLds_dp_ip_CI_unitstride_sbrr_dirReg: ; @fft_rtc_back_len3200_factors_10_10_4_4_2_wgs_160_tpt_160_halfLds_dp_ip_CI_unitstride_sbrr_dirReg
; %bb.0:
	s_clause 0x2
	s_load_b128 s[4:7], s[0:1], 0x0
	s_load_b64 s[8:9], s[0:1], 0x50
	s_load_b64 s[10:11], s[0:1], 0x18
	v_mul_u32_u24_e32 v1, 0x19a, v0
	v_mov_b32_e32 v3, 0
	s_delay_alu instid0(VALU_DEP_2) | instskip(NEXT) | instid1(VALU_DEP_1)
	v_lshrrev_b32_e32 v1, 16, v1
	v_add_nc_u32_e32 v5, ttmp9, v1
	v_mov_b32_e32 v1, 0
	v_mov_b32_e32 v2, 0
	;; [unrolled: 1-line block ×3, first 2 shown]
	s_wait_kmcnt 0x0
	v_cmp_lt_u64_e64 s2, s[6:7], 2
	s_delay_alu instid0(VALU_DEP_1)
	s_and_b32 vcc_lo, exec_lo, s2
	s_cbranch_vccnz .LBB0_8
; %bb.1:
	s_load_b64 s[2:3], s[0:1], 0x10
	v_mov_b32_e32 v1, 0
	v_mov_b32_e32 v2, 0
	s_add_nc_u64 s[12:13], s[10:11], 8
	s_mov_b64 s[14:15], 1
	s_wait_kmcnt 0x0
	s_add_nc_u64 s[16:17], s[2:3], 8
	s_mov_b32 s3, 0
.LBB0_2:                                ; =>This Inner Loop Header: Depth=1
	s_load_b64 s[18:19], s[16:17], 0x0
                                        ; implicit-def: $vgpr7_vgpr8
	s_mov_b32 s2, exec_lo
	s_wait_kmcnt 0x0
	v_or_b32_e32 v4, s19, v6
	s_delay_alu instid0(VALU_DEP_1)
	v_cmpx_ne_u64_e32 0, v[3:4]
	s_wait_alu 0xfffe
	s_xor_b32 s20, exec_lo, s2
	s_cbranch_execz .LBB0_4
; %bb.3:                                ;   in Loop: Header=BB0_2 Depth=1
	s_cvt_f32_u32 s2, s18
	s_cvt_f32_u32 s21, s19
	s_sub_nc_u64 s[24:25], 0, s[18:19]
	s_wait_alu 0xfffe
	s_delay_alu instid0(SALU_CYCLE_1) | instskip(SKIP_1) | instid1(SALU_CYCLE_2)
	s_fmamk_f32 s2, s21, 0x4f800000, s2
	s_wait_alu 0xfffe
	v_s_rcp_f32 s2, s2
	s_delay_alu instid0(TRANS32_DEP_1) | instskip(SKIP_1) | instid1(SALU_CYCLE_2)
	s_mul_f32 s2, s2, 0x5f7ffffc
	s_wait_alu 0xfffe
	s_mul_f32 s21, s2, 0x2f800000
	s_wait_alu 0xfffe
	s_delay_alu instid0(SALU_CYCLE_2) | instskip(SKIP_1) | instid1(SALU_CYCLE_2)
	s_trunc_f32 s21, s21
	s_wait_alu 0xfffe
	s_fmamk_f32 s2, s21, 0xcf800000, s2
	s_cvt_u32_f32 s23, s21
	s_wait_alu 0xfffe
	s_delay_alu instid0(SALU_CYCLE_1) | instskip(SKIP_1) | instid1(SALU_CYCLE_2)
	s_cvt_u32_f32 s22, s2
	s_wait_alu 0xfffe
	s_mul_u64 s[26:27], s[24:25], s[22:23]
	s_wait_alu 0xfffe
	s_mul_hi_u32 s29, s22, s27
	s_mul_i32 s28, s22, s27
	s_mul_hi_u32 s2, s22, s26
	s_mul_i32 s30, s23, s26
	s_wait_alu 0xfffe
	s_add_nc_u64 s[28:29], s[2:3], s[28:29]
	s_mul_hi_u32 s21, s23, s26
	s_mul_hi_u32 s31, s23, s27
	s_add_co_u32 s2, s28, s30
	s_wait_alu 0xfffe
	s_add_co_ci_u32 s2, s29, s21
	s_mul_i32 s26, s23, s27
	s_add_co_ci_u32 s27, s31, 0
	s_wait_alu 0xfffe
	s_add_nc_u64 s[26:27], s[2:3], s[26:27]
	s_wait_alu 0xfffe
	v_add_co_u32 v4, s2, s22, s26
	s_delay_alu instid0(VALU_DEP_1) | instskip(SKIP_1) | instid1(VALU_DEP_1)
	s_cmp_lg_u32 s2, 0
	s_add_co_ci_u32 s23, s23, s27
	v_readfirstlane_b32 s22, v4
	s_wait_alu 0xfffe
	s_delay_alu instid0(VALU_DEP_1)
	s_mul_u64 s[24:25], s[24:25], s[22:23]
	s_wait_alu 0xfffe
	s_mul_hi_u32 s27, s22, s25
	s_mul_i32 s26, s22, s25
	s_mul_hi_u32 s2, s22, s24
	s_mul_i32 s28, s23, s24
	s_wait_alu 0xfffe
	s_add_nc_u64 s[26:27], s[2:3], s[26:27]
	s_mul_hi_u32 s21, s23, s24
	s_mul_hi_u32 s22, s23, s25
	s_wait_alu 0xfffe
	s_add_co_u32 s2, s26, s28
	s_add_co_ci_u32 s2, s27, s21
	s_mul_i32 s24, s23, s25
	s_add_co_ci_u32 s25, s22, 0
	s_wait_alu 0xfffe
	s_add_nc_u64 s[24:25], s[2:3], s[24:25]
	s_wait_alu 0xfffe
	v_add_co_u32 v4, s2, v4, s24
	s_delay_alu instid0(VALU_DEP_1) | instskip(SKIP_1) | instid1(VALU_DEP_1)
	s_cmp_lg_u32 s2, 0
	s_add_co_ci_u32 s2, s23, s25
	v_mul_hi_u32 v13, v5, v4
	s_wait_alu 0xfffe
	v_mad_co_u64_u32 v[7:8], null, v5, s2, 0
	v_mad_co_u64_u32 v[9:10], null, v6, v4, 0
	;; [unrolled: 1-line block ×3, first 2 shown]
	s_delay_alu instid0(VALU_DEP_3) | instskip(SKIP_1) | instid1(VALU_DEP_4)
	v_add_co_u32 v4, vcc_lo, v13, v7
	s_wait_alu 0xfffd
	v_add_co_ci_u32_e32 v7, vcc_lo, 0, v8, vcc_lo
	s_delay_alu instid0(VALU_DEP_2) | instskip(SKIP_1) | instid1(VALU_DEP_2)
	v_add_co_u32 v4, vcc_lo, v4, v9
	s_wait_alu 0xfffd
	v_add_co_ci_u32_e32 v4, vcc_lo, v7, v10, vcc_lo
	s_wait_alu 0xfffd
	v_add_co_ci_u32_e32 v7, vcc_lo, 0, v12, vcc_lo
	s_delay_alu instid0(VALU_DEP_2) | instskip(SKIP_1) | instid1(VALU_DEP_2)
	v_add_co_u32 v4, vcc_lo, v4, v11
	s_wait_alu 0xfffd
	v_add_co_ci_u32_e32 v9, vcc_lo, 0, v7, vcc_lo
	s_delay_alu instid0(VALU_DEP_2) | instskip(SKIP_1) | instid1(VALU_DEP_3)
	v_mul_lo_u32 v10, s19, v4
	v_mad_co_u64_u32 v[7:8], null, s18, v4, 0
	v_mul_lo_u32 v11, s18, v9
	s_delay_alu instid0(VALU_DEP_2) | instskip(NEXT) | instid1(VALU_DEP_2)
	v_sub_co_u32 v7, vcc_lo, v5, v7
	v_add3_u32 v8, v8, v11, v10
	s_delay_alu instid0(VALU_DEP_1) | instskip(SKIP_1) | instid1(VALU_DEP_1)
	v_sub_nc_u32_e32 v10, v6, v8
	s_wait_alu 0xfffd
	v_subrev_co_ci_u32_e64 v10, s2, s19, v10, vcc_lo
	v_add_co_u32 v11, s2, v4, 2
	s_wait_alu 0xf1ff
	v_add_co_ci_u32_e64 v12, s2, 0, v9, s2
	v_sub_co_u32 v13, s2, v7, s18
	v_sub_co_ci_u32_e32 v8, vcc_lo, v6, v8, vcc_lo
	s_wait_alu 0xf1ff
	v_subrev_co_ci_u32_e64 v10, s2, 0, v10, s2
	s_delay_alu instid0(VALU_DEP_3) | instskip(NEXT) | instid1(VALU_DEP_3)
	v_cmp_le_u32_e32 vcc_lo, s18, v13
	v_cmp_eq_u32_e64 s2, s19, v8
	s_wait_alu 0xfffd
	v_cndmask_b32_e64 v13, 0, -1, vcc_lo
	v_cmp_le_u32_e32 vcc_lo, s19, v10
	s_wait_alu 0xfffd
	v_cndmask_b32_e64 v14, 0, -1, vcc_lo
	v_cmp_le_u32_e32 vcc_lo, s18, v7
	;; [unrolled: 3-line block ×3, first 2 shown]
	s_wait_alu 0xfffd
	v_cndmask_b32_e64 v15, 0, -1, vcc_lo
	v_cmp_eq_u32_e32 vcc_lo, s19, v10
	s_wait_alu 0xf1ff
	s_delay_alu instid0(VALU_DEP_2)
	v_cndmask_b32_e64 v7, v15, v7, s2
	s_wait_alu 0xfffd
	v_cndmask_b32_e32 v10, v14, v13, vcc_lo
	v_add_co_u32 v13, vcc_lo, v4, 1
	s_wait_alu 0xfffd
	v_add_co_ci_u32_e32 v14, vcc_lo, 0, v9, vcc_lo
	s_delay_alu instid0(VALU_DEP_3) | instskip(SKIP_2) | instid1(VALU_DEP_3)
	v_cmp_ne_u32_e32 vcc_lo, 0, v10
	s_wait_alu 0xfffd
	v_cndmask_b32_e32 v10, v13, v11, vcc_lo
	v_cndmask_b32_e32 v8, v14, v12, vcc_lo
	v_cmp_ne_u32_e32 vcc_lo, 0, v7
	s_wait_alu 0xfffd
	s_delay_alu instid0(VALU_DEP_2)
	v_dual_cndmask_b32 v7, v4, v10 :: v_dual_cndmask_b32 v8, v9, v8
.LBB0_4:                                ;   in Loop: Header=BB0_2 Depth=1
	s_wait_alu 0xfffe
	s_and_not1_saveexec_b32 s2, s20
	s_cbranch_execz .LBB0_6
; %bb.5:                                ;   in Loop: Header=BB0_2 Depth=1
	v_cvt_f32_u32_e32 v4, s18
	s_sub_co_i32 s20, 0, s18
	s_delay_alu instid0(VALU_DEP_1) | instskip(NEXT) | instid1(TRANS32_DEP_1)
	v_rcp_iflag_f32_e32 v4, v4
	v_mul_f32_e32 v4, 0x4f7ffffe, v4
	s_delay_alu instid0(VALU_DEP_1) | instskip(SKIP_1) | instid1(VALU_DEP_1)
	v_cvt_u32_f32_e32 v4, v4
	s_wait_alu 0xfffe
	v_mul_lo_u32 v7, s20, v4
	s_delay_alu instid0(VALU_DEP_1) | instskip(NEXT) | instid1(VALU_DEP_1)
	v_mul_hi_u32 v7, v4, v7
	v_add_nc_u32_e32 v4, v4, v7
	s_delay_alu instid0(VALU_DEP_1) | instskip(NEXT) | instid1(VALU_DEP_1)
	v_mul_hi_u32 v4, v5, v4
	v_mul_lo_u32 v7, v4, s18
	v_add_nc_u32_e32 v8, 1, v4
	s_delay_alu instid0(VALU_DEP_2) | instskip(NEXT) | instid1(VALU_DEP_1)
	v_sub_nc_u32_e32 v7, v5, v7
	v_subrev_nc_u32_e32 v9, s18, v7
	v_cmp_le_u32_e32 vcc_lo, s18, v7
	s_wait_alu 0xfffd
	s_delay_alu instid0(VALU_DEP_2) | instskip(NEXT) | instid1(VALU_DEP_1)
	v_dual_cndmask_b32 v7, v7, v9 :: v_dual_cndmask_b32 v4, v4, v8
	v_cmp_le_u32_e32 vcc_lo, s18, v7
	s_delay_alu instid0(VALU_DEP_2) | instskip(SKIP_1) | instid1(VALU_DEP_1)
	v_add_nc_u32_e32 v8, 1, v4
	s_wait_alu 0xfffd
	v_dual_cndmask_b32 v7, v4, v8 :: v_dual_mov_b32 v8, v3
.LBB0_6:                                ;   in Loop: Header=BB0_2 Depth=1
	s_wait_alu 0xfffe
	s_or_b32 exec_lo, exec_lo, s2
	s_load_b64 s[20:21], s[12:13], 0x0
	s_delay_alu instid0(VALU_DEP_1)
	v_mul_lo_u32 v4, v8, s18
	v_mul_lo_u32 v11, v7, s19
	v_mad_co_u64_u32 v[9:10], null, v7, s18, 0
	s_add_nc_u64 s[14:15], s[14:15], 1
	s_add_nc_u64 s[12:13], s[12:13], 8
	s_wait_alu 0xfffe
	v_cmp_ge_u64_e64 s2, s[14:15], s[6:7]
	s_add_nc_u64 s[16:17], s[16:17], 8
	s_delay_alu instid0(VALU_DEP_2) | instskip(NEXT) | instid1(VALU_DEP_3)
	v_add3_u32 v4, v10, v11, v4
	v_sub_co_u32 v5, vcc_lo, v5, v9
	s_wait_alu 0xfffd
	s_delay_alu instid0(VALU_DEP_2) | instskip(SKIP_3) | instid1(VALU_DEP_2)
	v_sub_co_ci_u32_e32 v4, vcc_lo, v6, v4, vcc_lo
	s_and_b32 vcc_lo, exec_lo, s2
	s_wait_kmcnt 0x0
	v_mul_lo_u32 v6, s21, v5
	v_mul_lo_u32 v4, s20, v4
	v_mad_co_u64_u32 v[1:2], null, s20, v5, v[1:2]
	s_delay_alu instid0(VALU_DEP_1)
	v_add3_u32 v2, v6, v2, v4
	s_wait_alu 0xfffe
	s_cbranch_vccnz .LBB0_9
; %bb.7:                                ;   in Loop: Header=BB0_2 Depth=1
	v_dual_mov_b32 v5, v7 :: v_dual_mov_b32 v6, v8
	s_branch .LBB0_2
.LBB0_8:
	v_dual_mov_b32 v8, v6 :: v_dual_mov_b32 v7, v5
.LBB0_9:
	s_lshl_b64 s[2:3], s[6:7], 3
	v_mul_hi_u32 v3, 0x199999a, v0
	s_wait_alu 0xfffe
	s_add_nc_u64 s[2:3], s[10:11], s[2:3]
	s_load_b64 s[2:3], s[2:3], 0x0
	s_load_b64 s[0:1], s[0:1], 0x20
	s_delay_alu instid0(VALU_DEP_1) | instskip(NEXT) | instid1(VALU_DEP_1)
	v_mul_u32_u24_e32 v3, 0xa0, v3
	v_sub_nc_u32_e32 v80, v0, v3
	s_delay_alu instid0(VALU_DEP_1)
	v_or_b32_e32 v84, 0x500, v80
	s_wait_kmcnt 0x0
	v_mul_lo_u32 v4, s2, v8
	v_mul_lo_u32 v5, s3, v7
	v_mad_co_u64_u32 v[1:2], null, s2, v7, v[1:2]
	v_cmp_gt_u64_e32 vcc_lo, s[0:1], v[7:8]
	v_cmp_le_u64_e64 s0, s[0:1], v[7:8]
	s_delay_alu instid0(VALU_DEP_3) | instskip(NEXT) | instid1(VALU_DEP_2)
	v_add3_u32 v2, v5, v2, v4
	s_and_saveexec_b32 s1, s0
	s_wait_alu 0xfffe
	s_xor_b32 s0, exec_lo, s1
; %bb.10:
	v_or_b32_e32 v84, 0x500, v80
; %bb.11:
	s_wait_alu 0xfffe
	s_or_saveexec_b32 s1, s0
	v_lshlrev_b64_e32 v[82:83], 4, v[1:2]
                                        ; implicit-def: $vgpr46_vgpr47
                                        ; implicit-def: $vgpr70_vgpr71
                                        ; implicit-def: $vgpr66_vgpr67
                                        ; implicit-def: $vgpr62_vgpr63
                                        ; implicit-def: $vgpr6_vgpr7
                                        ; implicit-def: $vgpr42_vgpr43
                                        ; implicit-def: $vgpr38_vgpr39
                                        ; implicit-def: $vgpr58_vgpr59
                                        ; implicit-def: $vgpr18_vgpr19
                                        ; implicit-def: $vgpr10_vgpr11
                                        ; implicit-def: $vgpr14_vgpr15
                                        ; implicit-def: $vgpr30_vgpr31
                                        ; implicit-def: $vgpr22_vgpr23
                                        ; implicit-def: $vgpr54_vgpr55
                                        ; implicit-def: $vgpr34_vgpr35
                                        ; implicit-def: $vgpr2_vgpr3
                                        ; implicit-def: $vgpr50_vgpr51
                                        ; implicit-def: $vgpr78_vgpr79
                                        ; implicit-def: $vgpr74_vgpr75
                                        ; implicit-def: $vgpr26_vgpr27
	s_wait_alu 0xfffe
	s_xor_b32 exec_lo, exec_lo, s1
; %bb.12:
	v_mov_b32_e32 v81, 0
	s_delay_alu instid0(VALU_DEP_2) | instskip(SKIP_2) | instid1(VALU_DEP_3)
	v_add_co_u32 v2, s0, s8, v82
	s_wait_alu 0xf1ff
	v_add_co_ci_u32_e64 v3, s0, s9, v83, s0
	v_lshlrev_b64_e32 v[0:1], 4, v[80:81]
	s_delay_alu instid0(VALU_DEP_1) | instskip(SKIP_1) | instid1(VALU_DEP_2)
	v_add_co_u32 v12, s0, v2, v0
	s_wait_alu 0xf1ff
	v_add_co_ci_u32_e64 v13, s0, v3, v1, s0
	s_clause 0x13
	global_load_b128 v[24:27], v[12:13], off
	global_load_b128 v[40:43], v[12:13], off offset:2560
	global_load_b128 v[44:47], v[12:13], off offset:5120
	;; [unrolled: 1-line block ×19, first 2 shown]
; %bb.13:
	s_or_b32 exec_lo, exec_lo, s1
	s_wait_loadcnt 0xf
	v_add_f64_e32 v[85:86], v[68:69], v[24:25]
	v_add_f64_e32 v[87:88], v[70:71], v[26:27]
	s_wait_loadcnt 0xd
	v_add_f64_e32 v[89:90], v[44:45], v[72:73]
	v_add_f64_e32 v[91:92], v[46:47], v[74:75]
	s_wait_loadcnt 0x7
	v_add_f64_e32 v[93:94], v[60:61], v[76:77]
	s_wait_loadcnt 0x3
	v_add_f64_e32 v[95:96], v[68:69], v[0:1]
	v_add_f64_e32 v[97:98], v[62:63], v[78:79]
	;; [unrolled: 1-line block ×5, first 2 shown]
	s_wait_loadcnt 0x1
	v_add_f64_e32 v[105:106], v[4:5], v[72:73]
	v_add_f64_e32 v[107:108], v[6:7], v[74:75]
	v_add_f64_e32 v[123:124], v[18:19], v[22:23]
	s_wait_loadcnt 0x0
	v_add_f64_e32 v[131:132], v[38:39], v[14:15]
	v_add_f64_e32 v[109:110], v[56:57], v[28:29]
	;; [unrolled: 1-line block ×5, first 2 shown]
	v_add_f64_e64 v[117:118], v[70:71], -v[2:3]
	v_add_f64_e64 v[119:120], v[68:69], -v[76:77]
	;; [unrolled: 1-line block ×9, first 2 shown]
	v_add_f64_e32 v[137:138], v[40:41], v[52:53]
	v_add_f64_e32 v[139:140], v[42:43], v[54:55]
	v_add_f64_e64 v[143:144], v[74:75], -v[6:7]
	v_add_f64_e64 v[145:146], v[72:73], -v[64:65]
	;; [unrolled: 1-line block ×9, first 2 shown]
	v_add_f64_e32 v[76:77], v[76:77], v[85:86]
	v_add_f64_e32 v[78:79], v[78:79], v[87:88]
	v_add_f64_e64 v[85:86], v[66:67], -v[50:51]
	v_add_f64_e64 v[87:88], v[64:65], -v[48:49]
	;; [unrolled: 1-line block ×3, first 2 shown]
	v_add_f64_e32 v[64:65], v[64:65], v[89:90]
	v_add_f64_e32 v[66:67], v[66:67], v[91:92]
	;; [unrolled: 1-line block ×3, first 2 shown]
	v_fma_f64 v[101:102], v[101:102], -0.5, v[46:47]
	v_add_f64_e64 v[91:92], v[36:37], -v[12:13]
	v_fma_f64 v[93:94], v[93:94], -0.5, v[24:25]
	v_fma_f64 v[46:47], v[107:108], -0.5, v[46:47]
	;; [unrolled: 1-line block ×6, first 2 shown]
	v_add_f64_e64 v[99:100], v[20:21], -v[16:17]
	v_fma_f64 v[103:104], v[103:104], -0.5, v[44:45]
	v_fma_f64 v[44:45], v[105:106], -0.5, v[44:45]
	;; [unrolled: 1-line block ×3, first 2 shown]
	v_add_f64_e32 v[123:124], v[36:37], v[12:13]
	s_mov_b32 s10, 0x134454ff
	s_mov_b32 s11, 0xbfee6f0e
	;; [unrolled: 1-line block ×4, first 2 shown]
	v_add_f64_e64 v[141:142], v[2:3], -v[62:63]
	v_add_f64_e64 v[159:160], v[54:55], -v[10:11]
	;; [unrolled: 1-line block ×5, first 2 shown]
	v_fma_f64 v[109:110], v[109:110], -0.5, v[40:41]
	v_fma_f64 v[40:41], v[111:112], -0.5, v[40:41]
	;; [unrolled: 1-line block ×4, first 2 shown]
	v_add_f64_e64 v[113:114], v[58:59], -v[30:31]
	v_add_f64_e32 v[115:116], v[56:57], v[137:138]
	v_add_f64_e32 v[58:59], v[58:59], v[139:140]
	;; [unrolled: 1-line block ×10, first 2 shown]
	v_add_f64_e64 v[139:140], v[38:39], -v[14:15]
	s_wait_alu 0xfffe
	v_fma_f64 v[119:120], v[72:73], s[2:3], v[101:102]
	v_fma_f64 v[89:90], v[89:90], -0.5, v[32:33]
	v_add_f64_e64 v[151:152], v[22:23], -v[38:39]
	v_fma_f64 v[133:134], v[87:88], s[10:11], v[46:47]
	v_fma_f64 v[46:47], v[87:88], s[2:3], v[46:47]
	v_add_f64_e64 v[153:154], v[18:19], -v[14:15]
	v_add_f64_e64 v[155:156], v[22:23], -v[18:19]
	v_fma_f64 v[149:150], v[91:92], s[2:3], v[97:98]
	v_fma_f64 v[97:98], v[91:92], s[10:11], v[97:98]
	;; [unrolled: 1-line block ×3, first 2 shown]
	v_add_f64_e64 v[145:146], v[38:39], -v[22:23]
	v_fma_f64 v[157:158], v[99:100], s[10:11], v[105:106]
	v_fma_f64 v[105:106], v[99:100], s[2:3], v[105:106]
	v_fma_f64 v[123:124], v[123:124], -0.5, v[32:33]
	v_add_f64_e64 v[147:148], v[14:15], -v[18:19]
	s_mov_b32 s12, 0x4755a5e
	s_mov_b32 s13, 0xbfe2cf23
	;; [unrolled: 1-line block ×4, first 2 shown]
	v_add_f64_e32 v[48:49], v[48:49], v[64:65]
	v_add_f64_e32 v[50:51], v[50:51], v[66:67]
	v_fma_f64 v[64:65], v[127:128], s[2:3], v[24:25]
	v_fma_f64 v[24:25], v[127:128], s[10:11], v[24:25]
	;; [unrolled: 1-line block ×3, first 2 shown]
	v_add_f64_e32 v[32:33], v[36:37], v[32:33]
	v_add_f64_e32 v[34:35], v[38:39], v[34:35]
	v_add_f64_e64 v[38:39], v[36:37], -v[20:21]
	v_add_f64_e64 v[36:37], v[20:21], -v[36:37]
	;; [unrolled: 1-line block ×3, first 2 shown]
	v_fma_f64 v[103:104], v[143:144], s[2:3], v[103:104]
	s_mov_b32 s14, 0x372fe950
	s_mov_b32 s15, 0x3fd3c6ef
	v_add_f64_e64 v[161:162], v[52:53], -v[56:57]
	v_add_f64_e64 v[163:164], v[56:57], -v[52:53]
	;; [unrolled: 1-line block ×4, first 2 shown]
	v_add_f64_e32 v[115:116], v[28:29], v[115:116]
	v_add_f64_e32 v[58:59], v[30:31], v[58:59]
	s_wait_alu 0xfffe
	v_fma_f64 v[119:120], v[87:88], s[6:7], v[119:120]
	v_add_f64_e32 v[70:71], v[131:132], v[70:71]
	s_mov_b32 s16, 0x9b97f4a8
	v_fma_f64 v[133:134], v[72:73], s[6:7], v[133:134]
	v_fma_f64 v[46:47], v[72:73], s[12:13], v[46:47]
	v_add_f64_e64 v[72:73], v[12:13], -v[16:17]
	v_add_f64_e32 v[151:152], v[153:154], v[151:152]
	v_fma_f64 v[149:150], v[99:100], s[6:7], v[149:150]
	v_fma_f64 v[97:98], v[99:100], s[12:13], v[97:98]
	v_add_f64_e64 v[99:100], v[16:17], -v[12:13]
	v_fma_f64 v[153:154], v[139:140], s[10:11], v[89:90]
	v_fma_f64 v[157:158], v[91:92], s[6:7], v[157:158]
	;; [unrolled: 1-line block ×7, first 2 shown]
	v_add_f64_e32 v[145:146], v[147:148], v[145:146]
	v_fma_f64 v[123:124], v[155:156], s[10:11], v[123:124]
	v_fma_f64 v[89:90], v[139:140], s[2:3], v[89:90]
	;; [unrolled: 1-line block ×7, first 2 shown]
	v_add_f64_e32 v[20:21], v[20:21], v[32:33]
	v_add_f64_e32 v[22:23], v[22:23], v[34:35]
	s_mov_b32 s17, 0x3fe9e377
	v_fma_f64 v[117:118], v[68:69], s[2:3], v[95:96]
	v_fma_f64 v[95:96], v[68:69], s[10:11], v[95:96]
	;; [unrolled: 1-line block ×5, first 2 shown]
	s_mov_b32 s21, 0xbfe9e377
	v_fma_f64 v[34:35], v[56:57], s[10:11], v[42:43]
	v_fma_f64 v[42:43], v[56:57], s[2:3], v[42:43]
	s_mov_b32 s20, s16
	v_add_f64_e32 v[125:126], v[141:142], v[125:126]
	v_fma_f64 v[119:120], v[137:138], s[14:15], v[119:120]
	s_mov_b32 s19, 0xbfd3c6ef
	s_mov_b32 s18, s14
	v_fma_f64 v[133:134], v[74:75], s[14:15], v[133:134]
	v_fma_f64 v[46:47], v[74:75], s[14:15], v[46:47]
	v_add_f64_e32 v[38:39], v[72:73], v[38:39]
	v_add_f64_e64 v[72:73], v[8:9], -v[28:29]
	v_add_f64_e64 v[28:29], v[28:29], -v[8:9]
	;; [unrolled: 1-line block ×3, first 2 shown]
	v_add_f64_e32 v[36:37], v[99:100], v[36:37]
	v_fma_f64 v[99:100], v[155:156], s[12:13], v[153:154]
	v_add_f64_e64 v[30:31], v[30:31], -v[10:11]
	v_fma_f64 v[91:92], v[151:152], s[14:15], v[91:92]
	v_fma_f64 v[105:106], v[139:140], s[12:13], v[105:106]
	;; [unrolled: 1-line block ×26, first 2 shown]
	v_add_f64_e32 v[16:17], v[16:17], v[20:21]
	v_add_f64_e32 v[18:19], v[18:19], v[22:23]
	;; [unrolled: 1-line block ×3, first 2 shown]
	v_mul_f64_e32 v[127:128], s[10:11], v[133:134]
	v_mul_f64_e32 v[129:130], s[10:11], v[46:47]
	s_wait_alu 0xfffe
	v_mul_f64_e32 v[46:47], s[18:19], v[46:47]
	v_add_f64_e32 v[68:69], v[72:73], v[161:162]
	v_add_f64_e32 v[28:29], v[28:29], v[163:164]
	;; [unrolled: 1-line block ×4, first 2 shown]
	v_fma_f64 v[78:79], v[38:39], s[14:15], v[99:100]
	v_add_f64_e32 v[22:23], v[30:31], v[54:55]
	v_fma_f64 v[30:31], v[52:53], s[6:7], v[34:35]
	v_fma_f64 v[99:100], v[36:37], s[14:15], v[105:106]
	v_mul_f64_e32 v[105:106], s[12:13], v[119:120]
	v_fma_f64 v[101:102], v[135:136], s[14:15], v[101:102]
	v_fma_f64 v[44:45], v[135:136], s[14:15], v[44:45]
	;; [unrolled: 1-line block ×4, first 2 shown]
	v_mul_f64_e32 v[113:114], s[12:13], v[87:88]
	v_fma_f64 v[131:132], v[159:160], s[12:13], v[137:138]
	v_fma_f64 v[40:41], v[159:160], s[6:7], v[40:41]
	v_mul_f64_e32 v[20:21], s[12:13], v[32:33]
	v_mul_f64_e32 v[135:136], s[10:11], v[149:150]
	v_fma_f64 v[36:37], v[36:37], s[14:15], v[123:124]
	v_mul_f64_e32 v[123:124], s[10:11], v[91:92]
	v_fma_f64 v[38:39], v[38:39], s[14:15], v[89:90]
	v_mul_f64_e32 v[89:90], s[12:13], v[97:98]
	v_mul_f64_e32 v[87:88], s[20:21], v[87:88]
	v_fma_f64 v[72:73], v[76:77], s[14:15], v[147:148]
	v_fma_f64 v[34:35], v[52:53], s[12:13], v[42:43]
	v_add_f64_e32 v[42:43], v[0:1], v[60:61]
	v_mul_f64_e32 v[4:5], s[18:19], v[91:92]
	v_mul_f64_e32 v[60:61], s[20:21], v[97:98]
	v_fma_f64 v[76:77], v[76:77], s[14:15], v[93:94]
	v_fma_f64 v[107:108], v[56:57], s[6:7], v[139:140]
	;; [unrolled: 1-line block ×3, first 2 shown]
	v_mul_f64_e32 v[111:112], s[16:17], v[119:120]
	v_add_f64_e32 v[50:51], v[6:7], v[50:51]
	v_fma_f64 v[95:96], v[125:126], s[14:15], v[95:96]
	v_fma_f64 v[103:104], v[70:71], s[14:15], v[103:104]
	;; [unrolled: 1-line block ×3, first 2 shown]
	v_cmp_gt_u32_e64 s0, 0x64, v80
	v_mul_f64_e32 v[0:1], s[6:7], v[78:79]
	v_mul_f64_e32 v[52:53], s[2:3], v[99:100]
	v_fma_f64 v[54:55], v[66:67], s[16:17], v[105:106]
	v_fma_f64 v[91:92], v[101:102], s[14:15], v[127:128]
	;; [unrolled: 1-line block ×3, first 2 shown]
	v_mul_f64_e32 v[119:120], s[2:3], v[101:102]
	v_add_f64_e32 v[101:102], v[8:9], v[115:116]
	v_fma_f64 v[93:94], v[85:86], s[20:21], v[113:114]
	v_fma_f64 v[105:106], v[68:69], s[14:15], v[121:122]
	;; [unrolled: 1-line block ×4, first 2 shown]
	v_add_f64_e32 v[28:29], v[12:13], v[16:17]
	v_fma_f64 v[78:79], v[78:79], s[16:17], v[20:21]
	v_fma_f64 v[99:100], v[99:100], s[14:15], v[135:136]
	;; [unrolled: 1-line block ×6, first 2 shown]
	v_add_f64_e32 v[109:110], v[10:11], v[58:59]
	v_add_f64_e64 v[10:11], v[42:43], -v[48:49]
	v_fma_f64 v[127:128], v[36:37], s[2:3], v[4:5]
	v_add_f64_e32 v[121:122], v[14:15], v[18:19]
	v_fma_f64 v[58:59], v[125:126], s[14:15], v[117:118]
	v_fma_f64 v[87:88], v[74:75], s[14:15], v[107:108]
	;; [unrolled: 1-line block ×7, first 2 shown]
	v_add_nc_u32_e32 v135, 0xa0, v80
	v_fma_f64 v[123:124], v[32:33], s[16:17], v[0:1]
	v_add_f64_e32 v[0:1], v[48:49], v[42:43]
	v_mul_u32_u24_e32 v48, 10, v80
	v_fma_f64 v[125:126], v[149:150], s[14:15], v[52:53]
	v_add_f64_e32 v[2:3], v[72:73], v[54:55]
	v_add_f64_e32 v[4:5], v[64:65], v[91:92]
	v_add_f64_e32 v[6:7], v[24:25], v[97:98]
	v_add_f64_e64 v[12:13], v[72:73], -v[54:55]
	v_add_f64_e64 v[14:15], v[64:65], -v[91:92]
	v_add_f64_e32 v[8:9], v[76:77], v[93:94]
	v_add_f64_e64 v[16:17], v[24:25], -v[97:98]
	v_add_f64_e64 v[18:19], v[76:77], -v[93:94]
	v_fma_f64 v[111:112], v[133:134], s[14:15], v[119:120]
	v_fma_f64 v[119:120], v[22:23], s[14:15], v[34:35]
	v_add_f64_e32 v[20:21], v[101:102], v[28:29]
	v_add_f64_e32 v[22:23], v[105:106], v[78:79]
	;; [unrolled: 1-line block ×4, first 2 shown]
	v_add_f64_e64 v[30:31], v[101:102], -v[28:29]
	v_add_f64_e32 v[28:29], v[68:69], v[89:90]
	v_add_f64_e64 v[36:37], v[40:41], -v[115:116]
	v_add_f64_e32 v[40:41], v[50:51], v[62:63]
	;; [unrolled: 2-line block ×3, first 2 shown]
	v_add_f64_e64 v[62:63], v[95:96], -v[85:86]
	v_lshl_add_u32 v85, v48, 3, 0
	ds_store_b128 v85, v[0:3]
	ds_store_b128 v85, v[4:7] offset:16
	ds_store_b128 v85, v[8:11] offset:32
	;; [unrolled: 1-line block ×7, first 2 shown]
	v_and_b32_e32 v16, 0xff, v80
	v_and_b32_e32 v21, 0xffff, v135
	v_add_f64_e64 v[32:33], v[105:106], -v[78:79]
	v_add_f64_e64 v[34:35], v[113:114], -v[99:100]
	v_add_f64_e32 v[42:43], v[58:59], v[66:67]
	v_mul_lo_u16 v20, 0xcd, v16
	v_add_f64_e32 v[46:47], v[70:71], v[117:118]
	v_add_f64_e64 v[60:61], v[70:71], -v[117:118]
	v_add_f64_e64 v[70:71], v[74:75], -v[125:126]
	v_add_f64_e32 v[72:73], v[74:75], v[125:126]
	v_add_f64_e32 v[74:75], v[119:120], v[127:128]
	v_add_f64_e64 v[38:39], v[68:69], -v[89:90]
	v_add_f64_e32 v[44:45], v[103:104], v[111:112]
	v_add_f64_e64 v[56:57], v[58:59], -v[66:67]
	v_add_f64_e64 v[58:59], v[103:104], -v[111:112]
	;; [unrolled: 1-line block ×3, first 2 shown]
	v_add_f64_e32 v[76:77], v[107:108], v[129:130]
	v_add_f64_e64 v[68:69], v[87:88], -v[123:124]
	v_add_f64_e32 v[64:65], v[109:110], v[121:122]
	v_add_f64_e32 v[66:67], v[87:88], v[123:124]
	v_add_f64_e64 v[89:90], v[119:120], -v[127:128]
	v_add_f64_e64 v[91:92], v[107:108], -v[129:130]
	v_lshrrev_b16 v139, 11, v20
	v_mul_u32_u24_e32 v24, 0xcccd, v21
	v_mad_i32_i24 v129, 0xffffffb8, v80, v85
	v_lshl_add_u32 v130, v84, 3, 0
	ds_store_b128 v85, v[32:35] offset:12848
	ds_store_b128 v85, v[36:39] offset:12864
	v_mul_lo_u16 v25, v139, 10
	v_lshrrev_b32_e32 v137, 19, v24
	v_add_nc_u32_e32 v97, 0x2c00, v129
	v_add_nc_u32_e32 v132, 0x4000, v129
	;; [unrolled: 1-line block ×3, first 2 shown]
	v_sub_nc_u16 v24, v80, v25
	v_mul_lo_u16 v25, v137, 10
	v_add_nc_u32_e32 v131, 0x3600, v129
	v_add_nc_u32_e32 v133, 0x4a00, v129
	;; [unrolled: 1-line block ×3, first 2 shown]
	v_and_b32_e32 v138, 0xff, v24
	v_sub_nc_u16 v24, v135, v25
	v_add_nc_u32_e32 v134, 0x5400, v129
	v_add_nc_u32_e32 v81, 0x1c00, v129
	global_wb scope:SCOPE_SE
	s_wait_dscnt 0x0
	v_mul_u32_u24_e32 v25, 9, v138
	v_and_b32_e32 v136, 0xffff, v24
	s_barrier_signal -1
	s_barrier_wait -1
	global_inv scope:SCOPE_SE
	v_lshlrev_b32_e32 v24, 4, v25
	v_mul_u32_u24_e32 v25, 9, v136
	ds_load_2addr_b64 v[0:3], v129 offset1:160
	ds_load_2addr_b64 v[4:7], v107 offset0:64 offset1:224
	ds_load_2addr_b64 v[48:51], v86 offset1:160
	ds_load_2addr_b64 v[8:11], v81 offset0:64 offset1:224
	ds_load_2addr_b64 v[93:96], v97 offset0:32 offset1:192
	;; [unrolled: 1-line block ×5, first 2 shown]
	ds_load_b64 v[156:157], v130
	ds_load_b64 v[87:88], v129 offset:24320
	ds_load_2addr_b64 v[20:23], v134 offset0:32 offset1:192
	v_lshlrev_b32_e32 v25, 4, v25
	global_wb scope:SCOPE_SE
	s_wait_dscnt 0x0
	s_barrier_signal -1
	s_barrier_wait -1
	global_inv scope:SCOPE_SE
	ds_store_b128 v85, v[40:43]
	ds_store_b128 v85, v[44:47] offset:16
	ds_store_b128 v85, v[52:55] offset:32
	ds_store_b128 v85, v[56:59] offset:48
	ds_store_b128 v85, v[60:63] offset:64
	ds_store_b128 v85, v[64:67] offset:12800
	ds_store_b128 v85, v[72:75] offset:12816
	ds_store_b128 v85, v[76:79] offset:12832
	ds_store_b128 v85, v[68:71] offset:12848
	ds_store_b128 v85, v[89:92] offset:12864
	global_wb scope:SCOPE_SE
	s_wait_dscnt 0x0
	s_barrier_signal -1
	s_barrier_wait -1
	global_inv scope:SCOPE_SE
	s_clause 0x11
	global_load_b128 v[52:55], v24, s[4:5] offset:16
	global_load_b128 v[56:59], v25, s[4:5] offset:16
	;; [unrolled: 1-line block ×16, first 2 shown]
	global_load_b128 v[28:31], v24, s[4:5]
	global_load_b128 v[24:27], v25, s[4:5]
	ds_load_2addr_b64 v[72:75], v86 offset1:160
	ds_load_2addr_b64 v[103:106], v97 offset0:32 offset1:192
	ds_load_2addr_b64 v[123:126], v132 offset0:32 offset1:192
	ds_load_b64 v[162:163], v130
	ds_load_b64 v[109:110], v129 offset:24320
	v_lshlrev_b32_e32 v136, 3, v136
	s_wait_loadcnt_dscnt 0x1104
	v_mul_f64_e32 v[76:77], v[72:73], v[54:55]
	v_mul_f64_e32 v[54:55], v[48:49], v[54:55]
	s_wait_loadcnt 0x10
	v_mul_f64_e32 v[78:79], v[74:75], v[58:59]
	v_mul_f64_e32 v[58:59], v[50:51], v[58:59]
	s_wait_loadcnt_dscnt 0xe03
	v_mul_f64_e32 v[127:128], v[103:104], v[101:102]
	v_mul_f64_e32 v[158:159], v[93:94], v[101:102]
	s_wait_loadcnt_dscnt 0xd02
	v_mul_f64_e32 v[160:161], v[125:126], v[117:118]
	v_mul_f64_e32 v[85:86], v[105:106], v[62:63]
	;; [unrolled: 1-line block ×4, first 2 shown]
	s_wait_loadcnt_dscnt 0xb01
	v_mul_f64_e32 v[164:165], v[162:163], v[142:143]
	v_mul_f64_e32 v[142:143], v[156:157], v[142:143]
	v_fma_f64 v[76:77], v[48:49], v[52:53], v[76:77]
	v_fma_f64 v[91:92], v[72:73], v[52:53], -v[54:55]
	v_fma_f64 v[78:79], v[50:51], v[56:57], v[78:79]
	ds_load_2addr_b64 v[52:55], v131 offset0:32 offset1:192
	v_fma_f64 v[89:90], v[74:75], v[56:57], -v[58:59]
	ds_load_2addr_b64 v[56:59], v133 offset0:32 offset1:192
	ds_load_2addr_b64 v[72:75], v134 offset0:32 offset1:192
	v_mul_f64_e32 v[48:49], v[123:124], v[121:122]
	v_mul_f64_e32 v[50:51], v[111:112], v[121:122]
	v_fma_f64 v[101:102], v[93:94], v[99:100], v[127:128]
	v_fma_f64 v[93:94], v[103:104], v[99:100], -v[158:159]
	v_fma_f64 v[103:104], v[113:114], v[115:116], v[160:161]
	v_fma_f64 v[97:98], v[95:96], v[60:61], v[85:86]
	v_fma_f64 v[95:96], v[105:106], v[60:61], -v[62:63]
	ds_load_2addr_b64 v[60:63], v81 offset0:64 offset1:224
	v_fma_f64 v[99:100], v[125:126], v[115:116], -v[117:118]
	s_wait_loadcnt 0x6
	v_mul_f64_e32 v[127:128], v[22:23], v[70:71]
	s_wait_loadcnt 0x5
	v_mul_f64_e32 v[113:114], v[10:11], v[34:35]
	;; [unrolled: 2-line block ×3, first 2 shown]
	s_wait_dscnt 0x3
	v_mul_f64_e32 v[158:159], v[54:55], v[146:147]
	v_mul_f64_e32 v[146:147], v[14:15], v[146:147]
	s_wait_dscnt 0x2
	v_mul_f64_e32 v[166:167], v[58:59], v[150:151]
	v_mul_f64_e32 v[150:151], v[18:19], v[150:151]
	;; [unrolled: 3-line block ×3, first 2 shown]
	v_mul_f64_e32 v[125:126], v[74:75], v[70:71]
	v_mul_f64_e32 v[115:116], v[52:53], v[42:43]
	v_fma_f64 v[70:71], v[156:157], v[140:141], v[164:165]
	s_wait_dscnt 0x0
	v_mul_f64_e32 v[121:122], v[60:61], v[66:67]
	v_fma_f64 v[105:106], v[111:112], v[119:120], v[48:49]
	v_fma_f64 v[85:86], v[123:124], v[119:120], -v[50:51]
	v_mul_f64_e32 v[123:124], v[8:9], v[66:67]
	ds_load_2addr_b64 v[48:51], v107 offset0:64 offset1:224
	v_mul_f64_e32 v[111:112], v[62:63], v[34:35]
	s_wait_loadcnt 0x2
	v_mul_f64_e32 v[119:120], v[109:110], v[46:47]
	v_mul_f64_e32 v[46:47], v[87:88], v[46:47]
	v_fma_f64 v[66:67], v[162:163], v[140:141], -v[142:143]
	v_fma_f64 v[62:63], v[62:63], v[32:33], -v[113:114]
	v_fma_f64 v[107:108], v[14:15], v[144:145], v[158:159]
	v_fma_f64 v[42:43], v[54:55], v[144:145], -v[146:147]
	v_mul_f64_e32 v[54:55], v[56:57], v[38:39]
	v_fma_f64 v[14:15], v[58:59], v[148:149], -v[150:151]
	v_mul_f64_e32 v[58:59], v[16:17], v[38:39]
	v_fma_f64 v[34:35], v[18:19], v[148:149], v[166:167]
	v_fma_f64 v[20:21], v[20:21], v[152:153], v[160:161]
	v_fma_f64 v[18:19], v[72:73], v[152:153], -v[154:155]
	v_fma_f64 v[125:126], v[22:23], v[68:69], v[125:126]
	v_dual_mov_b32 v39, 0 :: v_dual_add_nc_u32 v38, 0xffffff9c, v80
	v_fma_f64 v[121:122], v[8:9], v[64:65], v[121:122]
	v_fma_f64 v[8:9], v[74:75], v[68:69], -v[127:128]
	s_wait_loadcnt_dscnt 0x0
	v_mul_f64_e32 v[68:69], v[50:51], v[26:27]
	v_mul_f64_e32 v[26:27], v[6:7], v[26:27]
	s_wait_alu 0xf1ff
	v_cndmask_b32_e64 v72, v38, v80, s0
	v_add_f64_e64 v[148:149], v[78:79], -v[101:102]
	v_add_f64_e64 v[160:161], v[101:102], -v[78:79]
	s_delay_alu instid0(VALU_DEP_3)
	v_mul_i32_i24_e32 v38, 3, v72
	v_add_f64_e32 v[113:114], v[93:94], v[85:86]
	v_fma_f64 v[22:23], v[60:61], v[64:65], -v[123:124]
	v_mul_f64_e32 v[60:61], v[48:49], v[30:31]
	v_mul_f64_e32 v[64:65], v[4:5], v[30:31]
	v_fma_f64 v[10:11], v[10:11], v[32:33], v[111:112]
	v_fma_f64 v[111:112], v[12:13], v[40:41], v[115:116]
	v_fma_f64 v[40:41], v[52:53], v[40:41], -v[117:118]
	v_fma_f64 v[52:53], v[87:88], v[44:45], v[119:120]
	v_fma_f64 v[44:45], v[109:110], v[44:45], -v[46:47]
	v_lshlrev_b64_e32 v[73:74], 4, v[38:39]
	ds_load_2addr_b64 v[30:33], v129 offset1:160
	v_and_b32_e32 v38, 0xffff, v139
	global_wb scope:SCOPE_SE
	s_wait_dscnt 0x0
	s_barrier_signal -1
	s_barrier_wait -1
	v_add_f64_e32 v[46:47], v[70:71], v[107:108]
	v_add_co_u32 v12, s0, s4, v73
	v_fma_f64 v[16:17], v[16:17], v[36:37], v[54:55]
	v_fma_f64 v[36:37], v[56:57], v[36:37], -v[58:59]
	v_add_f64_e32 v[54:55], v[76:77], v[34:35]
	v_add_f64_e32 v[56:57], v[101:102], v[105:106]
	;; [unrolled: 1-line block ×6, first 2 shown]
	s_wait_alu 0xf1ff
	v_add_co_ci_u32_e64 v13, s0, s5, v74, s0
	v_add_f64_e64 v[73:74], v[76:77], -v[70:71]
	v_add_f64_e64 v[117:118], v[34:35], -v[107:108]
	;; [unrolled: 1-line block ×5, first 2 shown]
	v_fma_f64 v[6:7], v[6:7], v[24:25], v[68:69]
	v_fma_f64 v[24:25], v[50:51], v[24:25], -v[26:27]
	v_add_f64_e64 v[50:51], v[103:104], -v[125:126]
	v_add_f64_e64 v[142:143], v[107:108], -v[34:35]
	;; [unrolled: 1-line block ×5, first 2 shown]
	v_fma_f64 v[4:5], v[4:5], v[28:29], v[60:61]
	v_fma_f64 v[28:29], v[48:49], v[28:29], -v[64:65]
	v_add_f64_e64 v[48:49], v[97:98], -v[121:122]
	v_add_f64_e64 v[60:61], v[70:71], -v[76:77]
	;; [unrolled: 1-line block ×5, first 2 shown]
	v_add_f64_e32 v[26:27], v[0:1], v[76:77]
	v_add_f64_e32 v[64:65], v[2:3], v[78:79]
	v_add_f64_e64 v[162:163], v[105:106], -v[20:21]
	v_add_f64_e32 v[68:69], v[30:31], v[91:92]
	v_add_f64_e64 v[75:76], v[76:77], -v[34:35]
	v_add_f64_e64 v[77:78], v[78:79], -v[20:21]
	v_fma_f64 v[46:47], v[46:47], -0.5, v[0:1]
	v_mul_u32_u24_e32 v79, 0x320, v137
	v_mul_u32_u24_e32 v38, 0x320, v38
	v_add_f64_e64 v[154:155], v[52:53], -v[16:17]
	v_add_f64_e64 v[158:159], v[44:45], -v[36:37]
	v_fma_f64 v[0:1], v[54:55], -0.5, v[0:1]
	v_fma_f64 v[54:55], v[56:57], -0.5, v[2:3]
	v_fma_f64 v[2:3], v[58:59], -0.5, v[2:3]
	v_add_f64_e64 v[56:57], v[111:112], -v[10:11]
	v_add_f64_e64 v[58:59], v[16:17], -v[52:53]
	v_fma_f64 v[87:88], v[87:88], -0.5, v[30:31]
	v_fma_f64 v[30:31], v[109:110], -0.5, v[30:31]
	;; [unrolled: 1-line block ×4, first 2 shown]
	v_add_f64_e64 v[115:116], v[40:41], -v[62:63]
	v_add_f64_e32 v[73:74], v[73:74], v[117:118]
	v_add_f64_e64 v[117:118], v[36:37], -v[44:45]
	v_add_f64_e32 v[119:120], v[119:120], v[123:124]
	;; [unrolled: 2-line block ×3, first 2 shown]
	v_add3_u32 v79, 0, v79, v136
	global_inv scope:SCOPE_SE
	v_cmp_lt_u32_e64 s0, 0x63, v80
	v_add_f64_e32 v[148:149], v[148:149], v[150:151]
	v_add_f64_e32 v[127:128], v[127:128], v[140:141]
	v_add_f64_e64 v[140:141], v[14:15], -v[42:43]
	v_add_f64_e64 v[150:151], v[18:19], -v[85:86]
	v_add_f64_e32 v[48:49], v[48:49], v[50:51]
	v_add_f64_e32 v[60:61], v[60:61], v[142:143]
	v_add_f64_e64 v[142:143], v[66:67], -v[91:92]
	v_add_f64_e64 v[50:51], v[42:43], -v[14:15]
	v_add_f64_e32 v[144:145], v[144:145], v[146:147]
	v_add_f64_e64 v[146:147], v[89:90], -v[93:94]
	v_add_f64_e32 v[26:27], v[26:27], v[70:71]
	v_add_f64_e32 v[160:161], v[160:161], v[162:163]
	;; [unrolled: 1-line block ×3, first 2 shown]
	v_add_f64_e64 v[70:71], v[70:71], -v[107:108]
	v_add_f64_e32 v[64:65], v[64:65], v[101:102]
	v_add_f64_e64 v[101:102], v[101:102], -v[105:106]
	v_add_f64_e32 v[68:69], v[68:69], v[66:67]
	;; [unrolled: 2-line block ×4, first 2 shown]
	v_add_f64_e64 v[158:159], v[85:86], -v[18:19]
	v_add_f64_e64 v[91:92], v[91:92], -v[14:15]
	;; [unrolled: 1-line block ×3, first 2 shown]
	v_add_f64_e32 v[56:57], v[56:57], v[58:59]
	v_add_f64_e32 v[58:59], v[121:122], v[125:126]
	v_add_f64_e32 v[115:116], v[115:116], v[117:118]
	v_add_f64_e32 v[117:118], v[111:112], v[16:17]
	v_add_f64_e32 v[32:33], v[32:33], v[93:94]
	v_add_f64_e64 v[93:94], v[93:94], -v[85:86]
	v_add_f64_e32 v[123:124], v[123:124], v[140:141]
	v_add_f64_e32 v[140:141], v[10:11], v[52:53]
	;; [unrolled: 1-line block ×7, first 2 shown]
	v_fma_f64 v[162:163], v[162:163], -0.5, v[4:5]
	v_add_f64_e32 v[26:27], v[62:63], v[44:45]
	v_add_f64_e32 v[64:65], v[64:65], v[105:106]
	;; [unrolled: 1-line block ×5, first 2 shown]
	v_add_f64_e64 v[121:122], v[121:122], -v[125:126]
	v_fma_f64 v[4:5], v[58:59], -0.5, v[4:5]
	v_add_f64_e32 v[58:59], v[40:41], v[36:37]
	v_fma_f64 v[117:118], v[117:118], -0.5, v[6:7]
	v_add_f64_e32 v[32:33], v[32:33], v[85:86]
	v_fma_f64 v[85:86], v[70:71], s[10:11], v[30:31]
	v_fma_f64 v[140:141], v[140:141], -0.5, v[6:7]
	v_add_f64_e32 v[6:7], v[6:7], v[10:11]
	v_add_f64_e64 v[10:11], v[10:11], -v[52:53]
	v_fma_f64 v[142:143], v[142:143], -0.5, v[28:29]
	v_fma_f64 v[150:151], v[150:151], -0.5, v[28:29]
	v_add_f64_e32 v[28:29], v[28:29], v[22:23]
	v_add_f64_e64 v[22:23], v[22:23], -v[8:9]
	v_fma_f64 v[26:27], v[26:27], -0.5, v[24:25]
	v_add_f64_e32 v[34:35], v[107:108], v[34:35]
	v_fma_f64 v[107:108], v[77:78], s[2:3], v[109:110]
	v_fma_f64 v[109:110], v[77:78], s[10:11], v[109:110]
	v_add_f64_e32 v[20:21], v[64:65], v[20:21]
	v_add_f64_e32 v[14:15], v[68:69], v[14:15]
	;; [unrolled: 1-line block ×3, first 2 shown]
	v_add_f64_e64 v[97:98], v[97:98], -v[103:104]
	v_fma_f64 v[58:59], v[58:59], -0.5, v[24:25]
	v_add_f64_e32 v[24:25], v[24:25], v[62:63]
	v_add_f64_e64 v[62:63], v[62:63], -v[44:45]
	v_add_f64_e32 v[18:19], v[32:33], v[18:19]
	v_add_f64_e32 v[6:7], v[6:7], v[111:112]
	v_add_f64_e64 v[111:112], v[111:112], -v[16:17]
	v_fma_f64 v[105:106], v[121:122], s[10:11], v[142:143]
	v_add_f64_e32 v[28:29], v[28:29], v[95:96]
	v_add_f64_e64 v[95:96], v[95:96], -v[99:100]
	v_add_f64_e32 v[103:104], v[158:159], v[103:104]
	v_fma_f64 v[158:159], v[97:98], s[10:11], v[150:151]
	v_fma_f64 v[150:151], v[97:98], s[2:3], v[150:151]
	v_add_f64_e32 v[164:165], v[24:25], v[40:41]
	v_fma_f64 v[24:25], v[121:122], s[2:3], v[142:143]
	v_add_f64_e64 v[40:41], v[40:41], -v[36:37]
	v_fma_f64 v[166:167], v[62:63], s[10:11], v[117:118]
	v_fma_f64 v[117:118], v[62:63], s[2:3], v[117:118]
	v_add_f64_e32 v[6:7], v[6:7], v[16:17]
	v_fma_f64 v[16:17], v[111:112], s[10:11], v[26:27]
	v_fma_f64 v[26:27], v[111:112], s[2:3], v[26:27]
	v_add_f64_e32 v[99:100], v[28:29], v[99:100]
	v_fma_f64 v[28:29], v[10:11], s[2:3], v[58:59]
	v_fma_f64 v[58:59], v[10:11], s[10:11], v[58:59]
	;; [unrolled: 1-line block ×4, first 2 shown]
	v_add_f64_e32 v[103:104], v[103:104], v[125:126]
	v_fma_f64 v[142:143], v[121:122], s[6:7], v[158:159]
	v_fma_f64 v[121:122], v[121:122], s[12:13], v[150:151]
	;; [unrolled: 1-line block ×14, first 2 shown]
	v_add_f64_e32 v[36:37], v[164:165], v[36:37]
	v_add_f64_e32 v[6:7], v[6:7], v[52:53]
	v_fma_f64 v[162:163], v[10:11], s[6:7], v[16:17]
	v_fma_f64 v[10:11], v[10:11], s[12:13], v[26:27]
	;; [unrolled: 1-line block ×4, first 2 shown]
	v_lshrrev_b16 v17, 2, v135
	v_add_nc_u32_e32 v27, 0x140, v80
	v_add_f64_e32 v[8:9], v[99:100], v[8:9]
	v_fma_f64 v[168:169], v[111:112], s[6:7], v[28:29]
	v_fma_f64 v[58:59], v[111:112], s[12:13], v[58:59]
	;; [unrolled: 1-line block ×4, first 2 shown]
	v_and_b32_e32 v17, 0xffff, v17
	v_lshrrev_b16 v22, 2, v27
	v_lshl_add_u32 v16, v80, 3, 0
	v_add_nc_u32_e32 v26, 0x3000, v129
	v_add_nc_u32_e32 v23, 0x2800, v129
	v_mul_u32_u24_e32 v17, 0x147b, v17
	v_and_b32_e32 v29, 0xffff, v22
	v_fma_f64 v[142:143], v[144:145], s[14:15], v[142:143]
	v_fma_f64 v[121:122], v[144:145], s[14:15], v[121:122]
	v_fma_f64 v[150:151], v[95:96], s[12:13], v[150:151]
	v_fma_f64 v[95:96], v[95:96], s[6:7], v[158:159]
	v_fma_f64 v[158:159], v[66:67], s[2:3], v[0:1]
	v_fma_f64 v[0:1], v[66:67], s[10:11], v[0:1]
	v_fma_f64 v[144:145], v[89:90], s[10:11], v[54:55]
	v_fma_f64 v[105:106], v[62:63], s[12:13], v[105:106]
	v_fma_f64 v[62:63], v[62:63], s[6:7], v[140:141]
	v_fma_f64 v[140:141], v[91:92], s[10:11], v[46:47]
	v_fma_f64 v[46:47], v[91:92], s[2:3], v[46:47]
	v_fma_f64 v[54:55], v[89:90], s[2:3], v[54:55]
	v_fma_f64 v[170:171], v[127:128], s[14:15], v[24:25]
	v_fma_f64 v[97:98], v[127:128], s[14:15], v[97:98]
	v_fma_f64 v[2:3], v[89:90], s[6:7], v[2:3]
	v_fma_f64 v[40:41], v[152:153], s[14:15], v[40:41]
	v_lshrrev_b32_e32 v28, 17, v17
	v_mul_u32_u24_e32 v29, 0x147b, v29
	v_add_nc_u32_e32 v42, 0x100, v16
	v_add_nc_u32_e32 v17, 0x4400, v129
	v_fma_f64 v[127:128], v[115:116], s[14:15], v[162:163]
	v_fma_f64 v[10:11], v[115:116], s[14:15], v[10:11]
	;; [unrolled: 1-line block ×4, first 2 shown]
	v_mul_lo_u16 v22, 0x64, v28
	v_fma_f64 v[68:69], v[146:147], s[14:15], v[85:86]
	v_add_nc_u32_e32 v25, 0x5000, v129
	v_fma_f64 v[115:116], v[156:157], s[14:15], v[168:169]
	v_fma_f64 v[58:59], v[156:157], s[14:15], v[58:59]
	;; [unrolled: 1-line block ×5, first 2 shown]
	v_sub_nc_u16 v43, v135, v22
	v_lshrrev_b32_e32 v30, 17, v29
	v_add_f64_e32 v[31:32], v[36:37], v[44:45]
	v_lshlrev_b32_e32 v135, 3, v138
	v_add_f64_e32 v[36:37], v[34:35], v[103:104]
	v_and_b32_e32 v29, 0xffff, v43
	v_add_f64_e32 v[43:44], v[20:21], v[6:7]
	v_add_f64_e64 v[6:7], v[20:21], -v[6:7]
	v_fma_f64 v[20:21], v[50:51], s[14:15], v[52:53]
	v_fma_f64 v[48:49], v[119:120], s[14:15], v[95:96]
	;; [unrolled: 1-line block ×4, first 2 shown]
	v_add_f64_e64 v[33:34], v[34:35], -v[103:104]
	v_fma_f64 v[105:106], v[56:57], s[14:15], v[105:106]
	v_fma_f64 v[56:57], v[56:57], s[14:15], v[62:63]
	;; [unrolled: 1-line block ×8, first 2 shown]
	v_mul_f64_e32 v[95:96], s[12:13], v[170:171]
	v_fma_f64 v[144:145], v[152:153], s[14:15], v[166:167]
	v_mul_f64_e32 v[117:118], s[10:11], v[142:143]
	v_mul_f64_e32 v[119:120], s[10:11], v[121:122]
	;; [unrolled: 1-line block ×7, first 2 shown]
	v_fma_f64 v[2:3], v[160:161], s[14:15], v[2:3]
	v_add_nc_u32_e32 v24, 0x3c00, v129
	v_add_nc_u32_e32 v22, 0x5800, v129
	v_mul_f64_e32 v[62:63], s[12:13], v[115:116]
	v_mul_f64_e32 v[164:165], s[12:13], v[58:59]
	v_fma_f64 v[64:65], v[75:76], s[12:13], v[156:157]
	v_fma_f64 v[75:76], v[70:71], s[6:7], v[162:163]
	;; [unrolled: 1-line block ×6, first 2 shown]
	v_mul_f64_e32 v[109:110], s[14:15], v[142:143]
	v_mul_f64_e32 v[113:114], s[18:19], v[121:122]
	;; [unrolled: 1-line block ×3, first 2 shown]
	v_mul_u32_u24_e32 v28, 0xc80, v28
	v_fma_f64 v[107:108], v[60:61], s[14:15], v[158:159]
	v_fma_f64 v[0:1], v[60:61], s[14:15], v[0:1]
	v_mul_f64_e32 v[60:61], s[16:17], v[170:171]
	v_fma_f64 v[91:92], v[73:74], s[14:15], v[91:92]
	v_fma_f64 v[46:47], v[73:74], s[14:15], v[46:47]
	v_mul_f64_e32 v[73:74], s[16:17], v[115:116]
	v_mul_f64_e32 v[115:116], s[14:15], v[127:128]
	v_fma_f64 v[89:90], v[148:149], s[14:15], v[89:90]
	v_fma_f64 v[66:67], v[160:161], s[14:15], v[66:67]
	v_fma_f64 v[95:96], v[93:94], s[16:17], v[95:96]
	v_fma_f64 v[54:55], v[148:149], s[14:15], v[54:55]
	v_fma_f64 v[117:118], v[111:112], s[14:15], v[117:118]
	v_fma_f64 v[119:120], v[4:5], s[18:19], v[119:120]
	v_fma_f64 v[121:122], v[48:49], s[20:21], v[139:140]
	v_fma_f64 v[48:49], v[48:49], s[6:7], v[97:98]
	v_fma_f64 v[125:126], v[105:106], s[14:15], v[150:151]
	v_fma_f64 v[127:128], v[56:57], s[18:19], v[152:153]
	v_fma_f64 v[10:11], v[56:57], s[2:3], v[10:11]
	v_mul_u32_u24_e32 v139, 3, v29
	v_lshlrev_b32_e32 v29, 3, v29
	v_fma_f64 v[62:63], v[144:145], s[16:17], v[62:63]
	v_fma_f64 v[137:138], v[40:41], s[20:21], v[164:165]
	;; [unrolled: 1-line block ×11, first 2 shown]
	v_add_f64_e64 v[109:110], v[18:19], -v[31:32]
	v_fma_f64 v[60:61], v[93:94], s[6:7], v[60:61]
	v_fma_f64 v[73:74], v[144:145], s[6:7], v[73:74]
	;; [unrolled: 1-line block ×3, first 2 shown]
	v_add_f64_e32 v[56:57], v[91:92], v[95:96]
	v_add_f64_e64 v[91:92], v[91:92], -v[95:96]
	v_add_f64_e32 v[58:59], v[107:108], v[117:118]
	v_add_f64_e32 v[93:94], v[0:1], v[119:120]
	;; [unrolled: 1-line block ×3, first 2 shown]
	v_add_f64_e64 v[95:96], v[107:108], -v[117:118]
	v_add_f64_e64 v[0:1], v[0:1], -v[119:120]
	;; [unrolled: 1-line block ×3, first 2 shown]
	v_add_f64_e32 v[107:108], v[18:19], v[31:32]
	v_add_f64_e32 v[101:102], v[66:67], v[125:126]
	;; [unrolled: 1-line block ×3, first 2 shown]
	v_add_f64_e64 v[66:67], v[66:67], -v[125:126]
	v_add_f64_e32 v[99:100], v[89:90], v[62:63]
	v_add_f64_e64 v[62:63], v[89:90], -v[62:63]
	v_add_f64_e32 v[89:90], v[14:15], v[8:9]
	;; [unrolled: 2-line block ×5, first 2 shown]
	v_add_f64_e32 v[115:116], v[50:51], v[4:5]
	v_add_f64_e64 v[75:76], v[20:21], -v[75:76]
	v_add_f64_e64 v[119:120], v[50:51], -v[4:5]
	v_add_f64_e32 v[123:124], v[70:71], v[40:41]
	v_add_f64_e64 v[54:55], v[54:55], -v[137:138]
	v_add_f64_e64 v[40:41], v[70:71], -v[40:41]
	v_add3_u32 v126, 0, v38, v135
	v_lshlrev_b32_e32 v127, 4, v139
	v_add_f64_e32 v[111:112], v[52:53], v[60:61]
	v_add_f64_e64 v[60:61], v[52:53], -v[60:61]
	ds_store_2addr_b64 v126, v[36:37], v[56:57] offset1:10
	ds_store_2addr_b64 v126, v[58:59], v[93:94] offset0:20 offset1:30
	ds_store_2addr_b64 v126, v[97:98], v[33:34] offset0:40 offset1:50
	;; [unrolled: 1-line block ×4, first 2 shown]
	ds_store_2addr_b64 v79, v[43:44], v[99:100] offset1:10
	ds_store_2addr_b64 v79, v[101:102], v[103:104] offset0:20 offset1:30
	ds_store_2addr_b64 v79, v[105:106], v[6:7] offset0:40 offset1:50
	;; [unrolled: 1-line block ×4, first 2 shown]
	v_add_f64_e32 v[121:122], v[68:69], v[73:74]
	v_add_f64_e64 v[68:69], v[68:69], -v[73:74]
	v_add_f64_e32 v[73:74], v[85:86], v[87:88]
	v_add_f64_e64 v[85:86], v[85:86], -v[87:88]
	;; [unrolled: 2-line block ×3, first 2 shown]
	global_wb scope:SCOPE_SE
	s_wait_dscnt 0x0
	s_barrier_signal -1
	s_barrier_wait -1
	global_inv scope:SCOPE_SE
	ds_load_2addr_b64 v[4:7], v129 offset1:160
	ds_load_2addr_stride64_b64 v[0:3], v42 offset0:7 offset1:12
	ds_load_2addr_b64 v[18:21], v26 offset0:64 offset1:224
	ds_load_2addr_b64 v[31:34], v17 offset0:64 offset1:224
	;; [unrolled: 1-line block ×3, first 2 shown]
	ds_load_2addr_b64 v[43:46], v25 offset1:160
	ds_load_2addr_stride64_b64 v[8:11], v129 offset0:5 offset1:10
	ds_load_2addr_b64 v[47:50], v24 offset1:160
	ds_load_2addr_b64 v[51:54], v23 offset1:160
	ds_load_2addr_b64 v[55:58], v22 offset0:64 offset1:224
	global_wb scope:SCOPE_SE
	s_wait_dscnt 0x0
	s_barrier_signal -1
	s_barrier_wait -1
	global_inv scope:SCOPE_SE
	ds_store_2addr_b64 v126, v[89:90], v[111:112] offset1:10
	ds_store_2addr_b64 v126, v[113:114], v[115:116] offset0:20 offset1:30
	ds_store_2addr_b64 v126, v[117:118], v[14:15] offset0:40 offset1:50
	;; [unrolled: 1-line block ×4, first 2 shown]
	ds_store_2addr_b64 v79, v[107:108], v[121:122] offset1:10
	ds_store_2addr_b64 v79, v[73:74], v[87:88] offset0:20 offset1:30
	ds_store_2addr_b64 v79, v[123:124], v[109:110] offset0:40 offset1:50
	;; [unrolled: 1-line block ×4, first 2 shown]
	global_wb scope:SCOPE_SE
	s_wait_dscnt 0x0
	s_barrier_signal -1
	s_barrier_wait -1
	global_inv scope:SCOPE_SE
	s_clause 0x3
	global_load_b128 v[59:62], v[12:13], off offset:1456
	global_load_b128 v[89:92], v[12:13], off offset:1472
	global_load_b128 v[63:66], v127, s[4:5] offset:1456
	global_load_b128 v[85:88], v127, s[4:5] offset:1472
	v_mul_lo_u16 v125, 0x64, v30
	global_load_b128 v[67:70], v127, s[4:5] offset:1440
	v_add_nc_u16 v15, v80, 0x1e0
	v_add_nc_u16 v41, v80, 0x280
	v_mul_u32_u24_e32 v30, 0xc80, v30
	v_sub_nc_u16 v14, v27, v125
	s_delay_alu instid0(VALU_DEP_4) | instskip(NEXT) | instid1(VALU_DEP_4)
	v_lshrrev_b16 v71, 2, v15
	v_lshrrev_b16 v77, 2, v41
	s_delay_alu instid0(VALU_DEP_3) | instskip(NEXT) | instid1(VALU_DEP_3)
	v_and_b32_e32 v14, 0xffff, v14
	v_and_b32_e32 v71, 0xffff, v71
	s_delay_alu instid0(VALU_DEP_3) | instskip(NEXT) | instid1(VALU_DEP_3)
	v_and_b32_e32 v77, 0xffff, v77
	v_mul_u32_u24_e32 v40, 3, v14
	v_lshlrev_b32_e32 v14, 3, v14
	s_delay_alu instid0(VALU_DEP_4) | instskip(NEXT) | instid1(VALU_DEP_4)
	v_mul_u32_u24_e32 v71, 0x147b, v71
	v_mul_u32_u24_e32 v77, 0x147b, v77
	s_delay_alu instid0(VALU_DEP_4) | instskip(NEXT) | instid1(VALU_DEP_3)
	v_lshlrev_b32_e32 v40, 4, v40
	v_lshrrev_b32_e32 v71, 17, v71
	s_delay_alu instid0(VALU_DEP_3)
	v_lshrrev_b32_e32 v79, 17, v77
	s_clause 0x2
	global_load_b128 v[73:76], v40, s[4:5] offset:1440
	global_load_b128 v[93:96], v40, s[4:5] offset:1472
	;; [unrolled: 1-line block ×3, first 2 shown]
	v_mul_lo_u16 v77, 0x64, v71
	v_mul_lo_u16 v78, 0x64, v79
	s_delay_alu instid0(VALU_DEP_2) | instskip(NEXT) | instid1(VALU_DEP_2)
	v_sub_nc_u16 v15, v15, v77
	v_sub_nc_u16 v41, v41, v78
	s_delay_alu instid0(VALU_DEP_2) | instskip(NEXT) | instid1(VALU_DEP_2)
	v_and_b32_e32 v15, 0xffff, v15
	v_and_b32_e32 v157, 0xffff, v41
	s_delay_alu instid0(VALU_DEP_2) | instskip(NEXT) | instid1(VALU_DEP_2)
	v_mul_u32_u24_e32 v41, 3, v15
	v_mul_u32_u24_e32 v77, 3, v157
	v_lshlrev_b32_e32 v15, 3, v15
	s_delay_alu instid0(VALU_DEP_3) | instskip(NEXT) | instid1(VALU_DEP_3)
	v_lshlrev_b32_e32 v41, 4, v41
	v_lshlrev_b32_e32 v40, 4, v77
	s_clause 0x6
	global_load_b128 v[101:104], v41, s[4:5] offset:1456
	global_load_b128 v[105:108], v41, s[4:5] offset:1440
	;; [unrolled: 1-line block ×6, first 2 shown]
	global_load_b128 v[125:128], v[12:13], off offset:1440
	ds_load_2addr_b64 v[135:138], v26 offset0:64 offset1:224
	ds_load_2addr_b64 v[139:142], v81 offset0:64 offset1:224
	ds_load_2addr_b64 v[143:146], v25 offset1:160
	s_wait_loadcnt 0xe
	v_mul_f64_e32 v[40:41], v[18:19], v[61:62]
	s_wait_dscnt 0x2
	v_mul_f64_e32 v[12:13], v[135:136], v[61:62]
	s_wait_loadcnt 0xc
	v_mul_f64_e32 v[147:148], v[137:138], v[65:66]
	v_mul_f64_e32 v[65:66], v[20:21], v[65:66]
	s_wait_loadcnt_dscnt 0xa01
	v_mul_f64_e32 v[149:150], v[139:140], v[69:70]
	v_mul_f64_e32 v[69:70], v[35:36], v[69:70]
	s_wait_loadcnt 0x9
	v_mul_f64_e32 v[151:152], v[141:142], v[75:76]
	v_mul_f64_e32 v[153:154], v[37:38], v[75:76]
	ds_load_2addr_b64 v[75:78], v17 offset0:64 offset1:224
	v_fma_f64 v[40:41], v[135:136], v[59:60], -v[40:41]
	v_fma_f64 v[12:13], v[18:19], v[59:60], v[12:13]
	v_fma_f64 v[135:136], v[20:21], v[63:64], v[147:148]
	v_fma_f64 v[137:138], v[137:138], v[63:64], -v[65:66]
	s_wait_dscnt 0x1
	v_mul_f64_e32 v[63:64], v[143:144], v[87:88]
	v_mul_f64_e32 v[65:66], v[43:44], v[87:88]
	ds_load_2addr_b64 v[59:62], v24 offset1:160
	ds_load_2addr_b64 v[18:21], v23 offset1:160
	v_fma_f64 v[147:148], v[35:36], v[67:68], v[149:150]
	v_fma_f64 v[67:68], v[139:140], v[67:68], -v[69:70]
	s_wait_loadcnt 0x8
	v_mul_f64_e32 v[69:70], v[145:146], v[95:96]
	s_wait_dscnt 0x2
	v_mul_f64_e32 v[87:88], v[77:78], v[91:92]
	v_mul_f64_e32 v[91:92], v[33:34], v[91:92]
	s_wait_loadcnt_dscnt 0x701
	v_mul_f64_e32 v[139:140], v[59:60], v[99:100]
	s_wait_loadcnt_dscnt 0x500
	v_mul_f64_e32 v[155:156], v[18:19], v[107:108]
	v_fma_f64 v[149:150], v[37:38], v[73:74], v[151:152]
	ds_load_2addr_b64 v[35:38], v22 offset0:64 offset1:224
	v_mul_f64_e32 v[151:152], v[61:62], v[103:104]
	v_fma_f64 v[73:74], v[141:142], v[73:74], -v[153:154]
	s_wait_loadcnt 0x4
	v_mul_f64_e32 v[141:142], v[20:21], v[111:112]
	v_add_f64_e64 v[12:13], v[4:5], -v[12:13]
	v_fma_f64 v[43:44], v[43:44], v[85:86], v[63:64]
	v_fma_f64 v[85:86], v[143:144], v[85:86], -v[65:66]
	s_wait_loadcnt 0x3
	v_mul_f64_e32 v[143:144], v[75:76], v[115:116]
	ds_load_2addr_stride64_b64 v[63:66], v42 offset0:7 offset1:12
	v_mul_f64_e32 v[115:116], v[31:32], v[115:116]
	v_fma_f64 v[69:70], v[45:46], v[93:94], v[69:70]
	v_mul_f64_e32 v[45:46], v[45:46], v[95:96]
	v_fma_f64 v[87:88], v[33:34], v[89:90], v[87:88]
	v_fma_f64 v[77:78], v[77:78], v[89:90], -v[91:92]
	s_wait_loadcnt_dscnt 0x101
	v_mul_f64_e32 v[89:90], v[37:38], v[123:124]
	v_mul_f64_e32 v[91:92], v[47:48], v[99:100]
	;; [unrolled: 1-line block ×5, first 2 shown]
	v_fma_f64 v[47:48], v[47:48], v[97:98], v[139:140]
	s_wait_loadcnt_dscnt 0x0
	v_mul_f64_e32 v[107:108], v[65:66], v[127:128]
	v_fma_f64 v[51:52], v[51:52], v[105:106], v[155:156]
	v_fma_f64 v[95:96], v[49:50], v[101:102], v[151:152]
	v_mul_f64_e32 v[49:50], v[49:50], v[103:104]
	v_fma_f64 v[103:104], v[53:54], v[109:110], v[141:142]
	v_mul_f64_e32 v[53:54], v[53:54], v[111:112]
	v_fma_f64 v[4:5], v[4:5], 2.0, -v[12:13]
	v_add_f64_e64 v[43:44], v[147:148], -v[43:44]
	v_add_f64_e64 v[85:86], v[67:68], -v[85:86]
	v_fma_f64 v[111:112], v[31:32], v[113:114], v[143:144]
	v_mul_f64_e32 v[31:32], v[2:3], v[127:128]
	v_fma_f64 v[75:76], v[75:76], v[113:114], -v[115:116]
	v_add3_u32 v113, 0, v30, v14
	v_add_f64_e64 v[69:70], v[149:150], -v[69:70]
	v_fma_f64 v[45:46], v[145:146], v[93:94], -v[45:46]
	v_fma_f64 v[89:90], v[57:58], v[121:122], v[89:90]
	v_mul_f64_e32 v[57:58], v[57:58], v[123:124]
	v_fma_f64 v[59:60], v[59:60], v[97:98], -v[91:92]
	v_fma_f64 v[55:56], v[55:56], v[117:118], v[33:34]
	v_fma_f64 v[35:36], v[35:36], v[117:118], -v[119:120]
	v_add_nc_u32_e32 v117, 0x400, v113
	v_add_f64_e64 v[47:48], v[8:9], -v[47:48]
	v_fma_f64 v[2:3], v[2:3], v[125:126], v[107:108]
	v_add_f64_e64 v[91:92], v[0:1], -v[95:96]
	v_fma_f64 v[49:50], v[61:62], v[101:102], -v[49:50]
	v_fma_f64 v[61:62], v[18:19], v[105:106], -v[99:100]
	;; [unrolled: 1-line block ×3, first 2 shown]
	ds_load_2addr_stride64_b64 v[18:21], v129 offset0:5 offset1:10
	v_lshlrev_b32_e32 v110, 3, v72
	s_wait_alu 0xf1ff
	v_cndmask_b32_e64 v109, 0, 0xc80, s0
	v_cmp_gt_u32_e64 s0, 0x50, v80
	v_fma_f64 v[97:98], v[147:148], 2.0, -v[43:44]
	v_fma_f64 v[67:68], v[67:68], 2.0, -v[85:86]
	v_add_f64_e64 v[93:94], v[10:11], -v[111:112]
	v_fma_f64 v[65:66], v[65:66], v[125:126], -v[31:32]
	ds_load_2addr_b64 v[31:34], v129 offset1:160
	v_mul_u32_u24_e32 v111, 0xc80, v71
	v_fma_f64 v[99:100], v[149:150], 2.0, -v[69:70]
	v_add_f64_e64 v[45:46], v[73:74], -v[45:46]
	v_add3_u32 v112, 0, v28, v29
	global_wb scope:SCOPE_SE
	s_wait_dscnt 0x0
	v_add3_u32 v111, 0, v111, v15
	v_add_f64_e64 v[89:90], v[103:104], -v[89:90]
	v_fma_f64 v[37:38], v[37:38], v[121:122], -v[57:58]
	v_add_f64_e64 v[59:60], v[18:19], -v[59:60]
	v_add_f64_e64 v[55:56], v[51:52], -v[55:56]
	;; [unrolled: 1-line block ×3, first 2 shown]
	v_add_nc_u32_e32 v116, 0x400, v112
	v_add_nc_u32_e32 v118, 0x400, v111
	s_barrier_signal -1
	s_barrier_wait -1
	global_inv scope:SCOPE_SE
	v_fma_f64 v[8:9], v[8:9], 2.0, -v[47:48]
	v_add_f64_e64 v[57:58], v[2:3], -v[87:88]
	v_add_f64_e64 v[40:41], v[31:32], -v[40:41]
	;; [unrolled: 1-line block ×4, first 2 shown]
	v_fma_f64 v[0:1], v[0:1], 2.0, -v[91:92]
	v_add_f64_e64 v[49:50], v[63:64], -v[49:50]
	v_add_f64_e64 v[35:36], v[61:62], -v[35:36]
	v_fma_f64 v[10:11], v[10:11], 2.0, -v[93:94]
	v_add_f64_e64 v[77:78], v[65:66], -v[77:78]
	v_fma_f64 v[73:74], v[73:74], 2.0, -v[45:46]
	v_add_f64_e32 v[45:46], v[47:48], v[45:46]
	v_fma_f64 v[101:102], v[103:104], 2.0, -v[89:90]
	v_add_f64_e64 v[37:38], v[53:54], -v[37:38]
	v_fma_f64 v[18:19], v[18:19], 2.0, -v[59:60]
	v_fma_f64 v[51:52], v[51:52], 2.0, -v[55:56]
	v_fma_f64 v[20:21], v[20:21], 2.0, -v[75:76]
	v_mul_u32_u24_e32 v103, 3, v80
	v_add_f64_e64 v[69:70], v[59:60], -v[69:70]
	v_add_f64_e64 v[89:90], v[75:76], -v[89:90]
	s_delay_alu instid0(VALU_DEP_3)
	v_lshlrev_b32_e32 v121, 4, v103
	v_add_f64_e64 v[99:100], v[8:9], -v[99:100]
	v_fma_f64 v[2:3], v[2:3], 2.0, -v[57:58]
	v_fma_f64 v[31:32], v[31:32], 2.0, -v[40:41]
	;; [unrolled: 1-line block ×4, first 2 shown]
	v_add_f64_e64 v[71:72], v[40:41], -v[57:58]
	v_fma_f64 v[63:64], v[63:64], 2.0, -v[49:50]
	v_fma_f64 v[61:62], v[61:62], 2.0, -v[35:36]
	v_add_f64_e32 v[85:86], v[87:88], v[85:86]
	v_add_f64_e32 v[35:36], v[91:92], v[35:36]
	v_add_f64_e64 v[103:104], v[95:96], -v[43:44]
	v_add_f64_e64 v[105:106], v[49:50], -v[55:56]
	v_mul_u32_u24_e32 v57, 0xc80, v79
	v_add3_u32 v79, 0, v109, v110
	v_lshlrev_b32_e32 v58, 3, v157
	s_delay_alu instid0(VALU_DEP_2) | instskip(SKIP_2) | instid1(VALU_DEP_4)
	v_add_nc_u32_e32 v115, 0x400, v79
	v_fma_f64 v[65:66], v[65:66], 2.0, -v[77:78]
	v_add_f64_e32 v[77:78], v[12:13], v[77:78]
	v_add3_u32 v114, 0, v57, v58
	v_fma_f64 v[47:48], v[47:48], 2.0, -v[45:46]
	s_delay_alu instid0(VALU_DEP_2)
	v_add_nc_u32_e32 v119, 0x400, v114
	v_add_f64_e64 v[101:102], v[10:11], -v[101:102]
	v_fma_f64 v[53:54], v[53:54], 2.0, -v[37:38]
	v_add_f64_e32 v[37:38], v[93:94], v[37:38]
	v_add_f64_e64 v[73:74], v[18:19], -v[73:74]
	v_add_f64_e64 v[51:52], v[0:1], -v[51:52]
	v_fma_f64 v[59:60], v[59:60], 2.0, -v[69:70]
	v_fma_f64 v[75:76], v[75:76], 2.0, -v[89:90]
	;; [unrolled: 1-line block ×3, first 2 shown]
	v_add_f64_e64 v[2:3], v[4:5], -v[2:3]
	v_add_f64_e64 v[97:98], v[6:7], -v[97:98]
	;; [unrolled: 1-line block ×3, first 2 shown]
	v_fma_f64 v[14:15], v[40:41], 2.0, -v[71:72]
	v_add_f64_e64 v[61:62], v[63:64], -v[61:62]
	v_fma_f64 v[43:44], v[87:88], 2.0, -v[85:86]
	v_fma_f64 v[87:88], v[95:96], 2.0, -v[103:104]
	v_fma_f64 v[95:96], v[49:50], 2.0, -v[105:106]
	v_add_f64_e64 v[65:66], v[31:32], -v[65:66]
	v_fma_f64 v[12:13], v[12:13], 2.0, -v[77:78]
	v_fma_f64 v[10:11], v[10:11], 2.0, -v[101:102]
	v_add_f64_e64 v[107:108], v[20:21], -v[53:54]
	v_fma_f64 v[53:54], v[91:92], 2.0, -v[35:36]
	v_fma_f64 v[55:56], v[93:94], 2.0, -v[37:38]
	;; [unrolled: 1-line block ×7, first 2 shown]
	ds_store_2addr_b64 v115, v[2:3], v[77:78] offset0:72 offset1:172
	ds_store_2addr_b64 v79, v[4:5], v[12:13] offset1:100
	ds_store_2addr_b64 v112, v[6:7], v[43:44] offset1:100
	ds_store_2addr_b64 v116, v[97:98], v[85:86] offset0:72 offset1:172
	ds_store_2addr_b64 v113, v[8:9], v[47:48] offset1:100
	ds_store_2addr_b64 v117, v[99:100], v[45:46] offset0:72 offset1:172
	;; [unrolled: 2-line block ×4, first 2 shown]
	v_fma_f64 v[40:41], v[31:32], 2.0, -v[65:66]
	v_fma_f64 v[63:64], v[63:64], 2.0, -v[61:62]
	;; [unrolled: 1-line block ×3, first 2 shown]
	global_wb scope:SCOPE_SE
	s_wait_dscnt 0x0
	s_barrier_signal -1
	s_barrier_wait -1
	global_inv scope:SCOPE_SE
	ds_load_2addr_b64 v[8:11], v129 offset1:160
	ds_load_2addr_stride64_b64 v[0:3], v42 offset0:7 offset1:12
	ds_load_2addr_b64 v[18:21], v26 offset0:64 offset1:224
	ds_load_2addr_b64 v[28:31], v17 offset0:64 offset1:224
	ds_load_2addr_b64 v[32:35], v81 offset0:64 offset1:224
	ds_load_2addr_b64 v[43:46], v25 offset1:160
	ds_load_2addr_stride64_b64 v[4:7], v129 offset0:5 offset1:10
	ds_load_2addr_b64 v[47:50], v24 offset1:160
	ds_load_2addr_b64 v[51:54], v23 offset1:160
	ds_load_2addr_b64 v[55:58], v22 offset0:64 offset1:224
	global_wb scope:SCOPE_SE
	s_wait_dscnt 0x0
	s_barrier_signal -1
	s_barrier_wait -1
	global_inv scope:SCOPE_SE
	ds_store_2addr_b64 v79, v[40:41], v[14:15] offset1:100
	ds_store_2addr_b64 v115, v[65:66], v[71:72] offset0:72 offset1:172
	ds_store_2addr_b64 v112, v[91:92], v[87:88] offset1:100
	ds_store_2addr_b64 v116, v[67:68], v[103:104] offset0:72 offset1:172
	;; [unrolled: 2-line block ×5, first 2 shown]
	global_wb scope:SCOPE_SE
	s_wait_dscnt 0x0
	s_barrier_signal -1
	s_barrier_wait -1
	global_inv scope:SCOPE_SE
	s_clause 0x2
	global_load_b128 v[59:62], v121, s[4:5] offset:6256
	global_load_b128 v[67:70], v121, s[4:5] offset:13920
	;; [unrolled: 1-line block ×3, first 2 shown]
	v_add_nc_u32_e32 v12, 0xffffffb0, v80
	v_add_nc_u32_e32 v15, 0xf00, v121
	;; [unrolled: 1-line block ×3, first 2 shown]
	s_wait_alu 0xf1ff
	s_delay_alu instid0(VALU_DEP_3) | instskip(NEXT) | instid1(VALU_DEP_1)
	v_cndmask_b32_e64 v12, v12, v27, s0
	v_mul_i32_i24_e32 v38, 3, v12
	v_lshlrev_b32_e32 v12, 3, v12
	s_delay_alu instid0(VALU_DEP_2) | instskip(SKIP_1) | instid1(VALU_DEP_2)
	v_lshlrev_b64_e32 v[13:14], 4, v[38:39]
	v_add_nc_u32_e32 v38, 0x3400, v16
	v_add_co_u32 v13, s0, s4, v13
	s_wait_alu 0xf1ff
	s_delay_alu instid0(VALU_DEP_3)
	v_add_co_ci_u32_e64 v14, s0, s5, v14, s0
	v_cmp_lt_u32_e64 s0, 0x4f, v80
	s_clause 0x3
	global_load_b128 v[71:74], v[13:14], off offset:6240
	global_load_b128 v[75:78], v121, s[4:5] offset:13952
	global_load_b128 v[85:88], v[13:14], off offset:6272
	global_load_b128 v[89:92], v[13:14], off offset:6256
	v_add_nc_u32_e32 v13, 0x2d00, v121
	s_clause 0x7
	global_load_b128 v[93:96], v15, s[4:5] offset:6256
	global_load_b128 v[97:100], v15, s[4:5] offset:6240
	;; [unrolled: 1-line block ×8, first 2 shown]
	ds_load_2addr_b64 v[125:128], v26 offset0:64 offset1:224
	ds_load_2addr_b64 v[135:138], v81 offset0:64 offset1:224
	ds_load_2addr_b64 v[139:142], v25 offset1:160
	ds_load_2addr_b64 v[24:27], v24 offset1:160
	;; [unrolled: 1-line block ×3, first 2 shown]
	ds_load_2addr_b64 v[147:150], v22 offset0:64 offset1:224
	ds_load_2addr_b64 v[151:154], v17 offset0:64 offset1:224
	s_wait_alu 0xf1ff
	v_cndmask_b32_e64 v15, 0, 0x3200, s0
	v_add_nc_u32_e32 v81, 0x4c00, v16
	s_wait_loadcnt_dscnt 0xe06
	v_mul_f64_e32 v[13:14], v[125:126], v[61:62]
	v_mul_f64_e32 v[36:37], v[18:19], v[61:62]
	s_wait_loadcnt 0xc
	v_mul_f64_e32 v[40:41], v[127:128], v[65:66]
	v_mul_f64_e32 v[61:62], v[20:21], v[65:66]
	s_wait_dscnt 0x5
	v_mul_f64_e32 v[65:66], v[135:136], v[69:70]
	v_mul_f64_e32 v[69:70], v[32:33], v[69:70]
	s_wait_loadcnt_dscnt 0xa04
	v_mul_f64_e32 v[155:156], v[139:140], v[77:78]
	v_mul_f64_e32 v[22:23], v[137:138], v[73:74]
	s_wait_loadcnt 0x9
	v_mul_f64_e32 v[157:158], v[141:142], v[87:88]
	s_wait_loadcnt_dscnt 0x502
	v_mul_f64_e32 v[161:162], v[145:146], v[103:104]
	s_wait_loadcnt_dscnt 0x200
	v_mul_f64_e32 v[163:164], v[153:154], v[115:116]
	v_mul_f64_e32 v[159:160], v[24:25], v[91:92]
	v_fma_f64 v[13:14], v[18:19], v[59:60], v[13:14]
	v_fma_f64 v[36:37], v[125:126], v[59:60], -v[36:37]
	v_fma_f64 v[40:41], v[20:21], v[63:64], v[40:41]
	ds_load_2addr_stride64_b64 v[17:20], v42 offset0:7 offset1:12
	v_mul_f64_e32 v[59:60], v[26:27], v[95:96]
	v_fma_f64 v[61:62], v[127:128], v[63:64], -v[61:62]
	v_mul_f64_e32 v[63:64], v[147:148], v[107:108]
	v_mul_f64_e32 v[127:128], v[149:150], v[111:112]
	v_fma_f64 v[32:33], v[32:33], v[67:68], v[65:66]
	v_fma_f64 v[65:66], v[135:136], v[67:68], -v[69:70]
	s_wait_loadcnt 0x1
	v_mul_f64_e32 v[67:68], v[151:152], v[119:120]
	v_mul_f64_e32 v[125:126], v[143:144], v[99:100]
	s_wait_loadcnt_dscnt 0x0
	v_mul_f64_e32 v[69:70], v[19:20], v[123:124]
	v_fma_f64 v[135:136], v[34:35], v[71:72], v[22:23]
	v_mul_f64_e32 v[21:22], v[34:35], v[73:74]
	v_mul_f64_e32 v[34:35], v[43:44], v[77:78]
	v_fma_f64 v[73:74], v[45:46], v[85:86], v[157:158]
	v_mul_f64_e32 v[45:46], v[45:46], v[87:88]
	v_mul_f64_e32 v[77:78], v[47:48], v[91:92]
	v_mul_f64_e32 v[87:88], v[51:52], v[99:100]
	v_fma_f64 v[91:92], v[53:54], v[101:102], v[161:162]
	v_mul_f64_e32 v[53:54], v[53:54], v[103:104]
	;; [unrolled: 4-line block ×3, first 2 shown]
	v_mul_f64_e32 v[95:96], v[55:56], v[107:108]
	v_fma_f64 v[55:56], v[55:56], v[105:106], v[63:64]
	v_fma_f64 v[63:64], v[57:58], v[109:110], v[127:128]
	v_mul_f64_e32 v[57:58], v[57:58], v[111:112]
	v_fma_f64 v[67:68], v[28:29], v[117:118], v[67:68]
	v_mul_f64_e32 v[28:29], v[28:29], v[119:120]
	v_fma_f64 v[43:44], v[43:44], v[75:76], v[155:156]
	v_fma_f64 v[30:31], v[30:31], v[113:114], v[163:164]
	v_fma_f64 v[47:48], v[47:48], v[89:90], v[159:160]
	v_fma_f64 v[51:52], v[51:52], v[97:98], v[125:126]
	v_add_f64_e64 v[13:14], v[8:9], -v[13:14]
	v_add_f64_e64 v[40:41], v[10:11], -v[40:41]
	v_add_nc_u32_e32 v107, 0xc00, v129
	v_add_nc_u32_e32 v108, 0x1800, v129
	v_fma_f64 v[2:3], v[2:3], v[121:122], v[69:70]
	v_fma_f64 v[69:70], v[137:138], v[71:72], -v[21:22]
	v_fma_f64 v[34:35], v[139:140], v[75:76], -v[34:35]
	v_add_f64_e64 v[73:74], v[135:136], -v[73:74]
	v_fma_f64 v[45:46], v[141:142], v[85:86], -v[45:46]
	v_fma_f64 v[77:78], v[24:25], v[89:90], -v[77:78]
	;; [unrolled: 1-line block ×6, first 2 shown]
	v_add_f64_e64 v[59:60], v[0:1], -v[59:60]
	v_fma_f64 v[49:50], v[26:27], v[93:94], -v[49:50]
	v_fma_f64 v[85:86], v[147:148], v[105:106], -v[95:96]
	ds_load_2addr_b64 v[19:22], v129 offset1:160
	ds_load_2addr_stride64_b64 v[23:26], v129 offset0:5 offset1:10
	v_add_f64_e64 v[63:64], v[91:92], -v[63:64]
	v_fma_f64 v[57:58], v[149:150], v[109:110], -v[57:58]
	v_add_f64_e64 v[67:68], v[6:7], -v[67:68]
	v_fma_f64 v[27:28], v[151:152], v[117:118], -v[28:29]
	v_add_f64_e64 v[43:44], v[32:33], -v[43:44]
	v_add_nc_u32_e32 v106, 0x2400, v129
	v_add_f64_e64 v[47:48], v[4:5], -v[47:48]
	v_add_f64_e64 v[55:56], v[51:52], -v[55:56]
	v_fma_f64 v[8:9], v[8:9], 2.0, -v[13:14]
	v_fma_f64 v[10:11], v[10:11], 2.0, -v[40:41]
	global_wb scope:SCOPE_SE
	s_wait_dscnt 0x0
	s_barrier_signal -1
	s_barrier_wait -1
	global_inv scope:SCOPE_SE
	v_add3_u32 v109, 0, v15, v12
	v_add_f64_e64 v[29:30], v[2:3], -v[30:31]
	v_add_nc_u32_e32 v105, 0x5800, v16
	v_add_f64_e64 v[36:37], v[19:20], -v[36:37]
	v_add_f64_e64 v[61:62], v[21:22], -v[61:62]
	;; [unrolled: 1-line block ×3, first 2 shown]
	v_fma_f64 v[87:88], v[135:136], 2.0, -v[73:74]
	v_add_f64_e64 v[45:46], v[69:70], -v[45:46]
	v_add_f64_e64 v[77:78], v[23:24], -v[77:78]
	;; [unrolled: 1-line block ×3, first 2 shown]
	v_fma_f64 v[0:1], v[0:1], 2.0, -v[59:60]
	v_add_f64_e64 v[49:50], v[17:18], -v[49:50]
	v_add_f64_e64 v[85:86], v[75:76], -v[85:86]
	v_fma_f64 v[89:90], v[91:92], 2.0, -v[63:64]
	v_add_f64_e64 v[57:58], v[53:54], -v[57:58]
	v_fma_f64 v[6:7], v[6:7], 2.0, -v[67:68]
	;; [unrolled: 2-line block ×3, first 2 shown]
	v_fma_f64 v[4:5], v[4:5], 2.0, -v[47:48]
	v_fma_f64 v[51:52], v[51:52], 2.0, -v[55:56]
	;; [unrolled: 1-line block ×5, first 2 shown]
	v_add_f64_e64 v[93:94], v[36:37], -v[29:30]
	v_add_f64_e64 v[43:44], v[61:62], -v[43:44]
	v_fma_f64 v[65:66], v[65:66], 2.0, -v[34:35]
	v_add_f64_e32 v[33:34], v[40:41], v[34:35]
	v_fma_f64 v[69:70], v[69:70], 2.0, -v[45:46]
	v_fma_f64 v[23:24], v[23:24], 2.0, -v[77:78]
	v_add_f64_e32 v[45:46], v[47:48], v[45:46]
	v_add_f64_e64 v[73:74], v[77:78], -v[73:74]
	v_add_f64_e32 v[91:92], v[13:14], v[71:72]
	v_fma_f64 v[71:72], v[99:100], 2.0, -v[71:72]
	v_fma_f64 v[17:18], v[17:18], 2.0, -v[49:50]
	;; [unrolled: 1-line block ×3, first 2 shown]
	v_add_f64_e32 v[85:86], v[59:60], v[85:86]
	v_add_f64_e64 v[55:56], v[49:50], -v[55:56]
	v_fma_f64 v[53:54], v[53:54], 2.0, -v[57:58]
	v_add_f64_e64 v[89:90], v[6:7], -v[89:90]
	v_fma_f64 v[25:26], v[25:26], 2.0, -v[27:28]
	v_add_f64_e64 v[31:32], v[10:11], -v[31:32]
	v_add_f64_e32 v[57:58], v[67:68], v[57:58]
	v_add_f64_e64 v[87:88], v[4:5], -v[87:88]
	v_add_f64_e64 v[51:52], v[0:1], -v[51:52]
	v_add_f64_e64 v[63:64], v[27:28], -v[63:64]
	v_add_f64_e64 v[2:3], v[8:9], -v[2:3]
	v_fma_f64 v[61:62], v[61:62], 2.0, -v[43:44]
	v_add_f64_e64 v[65:66], v[21:22], -v[65:66]
	v_fma_f64 v[29:30], v[40:41], 2.0, -v[33:34]
	v_add_f64_e64 v[69:70], v[23:24], -v[69:70]
	v_fma_f64 v[40:41], v[47:48], 2.0, -v[45:46]
	v_fma_f64 v[77:78], v[77:78], 2.0, -v[73:74]
	;; [unrolled: 1-line block ×3, first 2 shown]
	v_add_f64_e64 v[71:72], v[19:20], -v[71:72]
	ds_store_2addr_b64 v106, v[91:92], v[33:34] offset0:48 offset1:208
	v_add_f64_e64 v[75:76], v[17:18], -v[75:76]
	v_fma_f64 v[47:48], v[59:60], 2.0, -v[85:86]
	v_fma_f64 v[49:50], v[49:50], 2.0, -v[55:56]
	;; [unrolled: 1-line block ×3, first 2 shown]
	v_add_f64_e64 v[53:54], v[25:26], -v[53:54]
	v_fma_f64 v[10:11], v[10:11], 2.0, -v[31:32]
	v_fma_f64 v[59:60], v[67:68], 2.0, -v[57:58]
	;; [unrolled: 1-line block ×9, first 2 shown]
	ds_store_2addr_b64 v107, v[13:14], v[29:30] offset0:16 offset1:176
	v_fma_f64 v[91:92], v[19:20], 2.0, -v[71:72]
	ds_store_2addr_b64 v108, v[2:3], v[31:32] offset0:32 offset1:192
	ds_store_2addr_b64 v129, v[8:9], v[10:11] offset1:160
	ds_store_b64 v109, v[4:5]
	ds_store_b64 v109, v[40:41] offset:3200
	ds_store_b64 v109, v[87:88] offset:6400
	;; [unrolled: 1-line block ×3, first 2 shown]
	ds_store_2addr_b64 v38, v[0:1], v[6:7] offset0:16 offset1:176
	ds_store_2addr_b64 v79, v[47:48], v[59:60] offset0:32 offset1:192
	;; [unrolled: 1-line block ×4, first 2 shown]
	v_fma_f64 v[101:102], v[17:18], 2.0, -v[75:76]
	v_fma_f64 v[103:104], v[25:26], 2.0, -v[53:54]
	global_wb scope:SCOPE_SE
	s_wait_dscnt 0x0
	s_barrier_signal -1
	s_barrier_wait -1
	global_inv scope:SCOPE_SE
	ds_load_2addr_b64 v[12:15], v129 offset1:160
	ds_load_2addr_stride64_b64 v[4:7], v129 offset0:15 offset1:25
	ds_load_2addr_b64 v[20:23], v131 offset0:32 offset1:192
	ds_load_2addr_stride64_b64 v[0:3], v129 offset0:5 offset1:10
	ds_load_b64 v[36:37], v130
	ds_load_b64 v[40:41], v129 offset:24320
	ds_load_2addr_stride64_b64 v[16:19], v42 offset0:7 offset1:12
	ds_load_2addr_b64 v[24:27], v132 offset0:32 offset1:192
	ds_load_2addr_b64 v[32:35], v133 offset0:32 offset1:192
	ds_load_2addr_stride64_b64 v[8:11], v42 offset0:17 offset1:22
	ds_load_2addr_b64 v[28:31], v134 offset0:32 offset1:192
	global_wb scope:SCOPE_SE
	s_wait_dscnt 0x0
	s_barrier_signal -1
	s_barrier_wait -1
	global_inv scope:SCOPE_SE
	ds_store_2addr_b64 v107, v[67:68], v[61:62] offset0:16 offset1:176
	ds_store_2addr_b64 v129, v[91:92], v[95:96] offset1:160
	ds_store_2addr_b64 v108, v[71:72], v[65:66] offset0:32 offset1:192
	ds_store_2addr_b64 v106, v[93:94], v[43:44] offset0:48 offset1:208
	ds_store_b64 v109, v[97:98]
	ds_store_b64 v109, v[77:78] offset:3200
	ds_store_b64 v109, v[69:70] offset:6400
	;; [unrolled: 1-line block ×3, first 2 shown]
	ds_store_2addr_b64 v38, v[101:102], v[103:104] offset0:16 offset1:176
	ds_store_2addr_b64 v79, v[49:50], v[99:100] offset0:32 offset1:192
	;; [unrolled: 1-line block ×4, first 2 shown]
	global_wb scope:SCOPE_SE
	s_wait_dscnt 0x0
	s_barrier_signal -1
	s_barrier_wait -1
	global_inv scope:SCOPE_SE
	s_and_saveexec_b32 s0, vcc_lo
	s_cbranch_execz .LBB0_15
; %bb.14:
	v_mov_b32_e32 v81, v39
	v_dual_mov_b32 v85, v39 :: v_dual_add_nc_u32 v38, 0x3c0, v80
	s_delay_alu instid0(VALU_DEP_2) | instskip(NEXT) | instid1(VALU_DEP_2)
	v_lshlrev_b64_e32 v[112:113], 4, v[80:81]
	v_lshlrev_b64_e32 v[71:72], 4, v[84:85]
	s_delay_alu instid0(VALU_DEP_2) | instskip(SKIP_1) | instid1(VALU_DEP_3)
	v_add_co_u32 v86, vcc_lo, s4, v112
	s_wait_alu 0xfffd
	v_add_co_ci_u32_e32 v87, vcc_lo, s5, v113, vcc_lo
	s_delay_alu instid0(VALU_DEP_3)
	v_add_co_u32 v75, vcc_lo, s4, v71
	s_wait_alu 0xfffd
	v_add_co_ci_u32_e32 v76, vcc_lo, s5, v72, vcc_lo
	s_clause 0x9
	global_load_b128 v[43:46], v[86:87], off offset:43360
	global_load_b128 v[47:50], v[86:87], off offset:40800
	;; [unrolled: 1-line block ×10, first 2 shown]
	ds_load_2addr_stride64_b64 v[88:91], v129 offset0:15 offset1:25
	ds_load_2addr_b64 v[92:95], v131 offset0:32 offset1:192
	ds_load_2addr_b64 v[96:99], v132 offset0:32 offset1:192
	;; [unrolled: 1-line block ×4, first 2 shown]
	ds_load_b64 v[114:115], v129 offset:24320
	ds_load_b64 v[116:117], v130
	ds_load_2addr_stride64_b64 v[108:111], v42 offset0:17 offset1:22
	s_wait_loadcnt 0x9
	v_mul_f64_e32 v[118:119], v[28:29], v[45:46]
	s_wait_loadcnt 0x8
	v_mul_f64_e32 v[120:121], v[34:35], v[49:50]
	;; [unrolled: 2-line block ×7, first 2 shown]
	s_wait_dscnt 0x7
	v_mul_f64_e32 v[69:70], v[90:91], v[69:70]
	s_wait_dscnt 0x6
	v_mul_f64_e32 v[65:66], v[92:93], v[65:66]
	v_mul_f64_e32 v[61:62], v[94:95], v[61:62]
	s_wait_dscnt 0x5
	v_mul_f64_e32 v[57:58], v[96:97], v[57:58]
	s_wait_dscnt 0x4
	v_mul_f64_e32 v[53:54], v[100:101], v[53:54]
	v_mul_f64_e32 v[49:50], v[102:103], v[49:50]
	s_wait_loadcnt 0x2
	v_mul_f64_e32 v[134:135], v[26:27], v[73:74]
	v_mul_f64_e32 v[73:74], v[98:99], v[73:74]
	s_wait_dscnt 0x3
	v_mul_f64_e32 v[45:46], v[104:105], v[45:46]
	s_wait_loadcnt 0x1
	v_mul_f64_e32 v[136:137], v[30:31], v[77:78]
	v_mul_f64_e32 v[77:78], v[106:107], v[77:78]
	s_wait_loadcnt 0x0
	v_mul_f64_e32 v[138:139], v[40:41], v[86:87]
	s_wait_dscnt 0x2
	v_mul_f64_e32 v[86:87], v[114:115], v[86:87]
	v_fma_f64 v[104:105], v[43:44], v[104:105], -v[118:119]
	v_fma_f64 v[102:103], v[47:48], v[102:103], -v[120:121]
	;; [unrolled: 1-line block ×7, first 2 shown]
	v_fma_f64 v[6:7], v[6:7], v[67:68], v[69:70]
	v_fma_f64 v[64:65], v[20:21], v[63:64], v[65:66]
	;; [unrolled: 1-line block ×6, first 2 shown]
	v_fma_f64 v[98:99], v[71:72], v[98:99], -v[134:135]
	v_fma_f64 v[70:71], v[26:27], v[71:72], v[73:74]
	v_fma_f64 v[72:73], v[28:29], v[43:44], v[45:46]
	v_fma_f64 v[106:107], v[75:76], v[106:107], -v[136:137]
	v_fma_f64 v[74:75], v[30:31], v[75:76], v[77:78]
	v_fma_f64 v[76:77], v[84:85], v[114:115], -v[138:139]
	v_fma_f64 v[78:79], v[40:41], v[84:85], v[86:87]
	ds_load_2addr_stride64_b64 v[20:23], v42 offset0:7 offset1:12
	ds_load_2addr_stride64_b64 v[24:27], v129 offset0:5 offset1:10
	ds_load_2addr_b64 v[28:31], v129 offset1:160
	v_add_nc_u32_e32 v34, 0x320, v80
	s_delay_alu instid0(VALU_DEP_1)
	v_mul_hi_u32 v81, 0x51eb851f, v34
	s_wait_dscnt 0x3
	v_add_f64_e64 v[34:35], v[108:109], -v[104:105]
	v_add_f64_e64 v[42:43], v[88:89], -v[102:103]
	s_wait_dscnt 0x2
	v_add_f64_e64 v[46:47], v[22:23], -v[100:101]
	v_add_f64_e64 v[50:51], v[20:21], -v[96:97]
	s_wait_dscnt 0x1
	v_add_f64_e64 v[54:55], v[24:25], -v[94:95]
	s_wait_dscnt 0x0
	v_add_f64_e64 v[58:59], v[30:31], -v[92:93]
	v_add_f64_e64 v[62:63], v[28:29], -v[90:91]
	;; [unrolled: 1-line block ×15, first 2 shown]
	v_mul_hi_u32 v6, 0x51eb851f, v38
	v_add_nc_u32_e32 v7, 0x5a0, v80
	v_lshrrev_b32_e32 v38, 9, v81
	v_add_co_u32 v94, vcc_lo, s8, v82
	s_wait_alu 0xfffd
	v_add_co_ci_u32_e32 v95, vcc_lo, s9, v83, vcc_lo
	v_mul_hi_u32 v7, 0x51eb851f, v7
	v_lshrrev_b32_e32 v6, 9, v6
	v_mul_u32_u24_e32 v38, 0x640, v38
	s_delay_alu instid0(VALU_DEP_1) | instskip(NEXT) | instid1(VALU_DEP_4)
	v_lshlrev_b64_e32 v[92:93], 4, v[38:39]
	v_lshrrev_b32_e32 v96, 9, v7
	s_delay_alu instid0(VALU_DEP_4)
	v_mul_u32_u24_e32 v38, 0x640, v6
	v_fma_f64 v[6:7], v[108:109], 2.0, -v[34:35]
	v_fma_f64 v[78:79], v[88:89], 2.0, -v[42:43]
	;; [unrolled: 1-line block ×20, first 2 shown]
	v_add_co_u32 v8, vcc_lo, v94, v112
	v_lshlrev_b64_e32 v[10:11], 4, v[38:39]
	v_mul_u32_u24_e32 v38, 0x640, v96
	s_wait_alu 0xfffd
	v_add_co_ci_u32_e32 v9, vcc_lo, v95, v113, vcc_lo
	v_add_co_u32 v24, vcc_lo, v8, v92
	s_delay_alu instid0(VALU_DEP_3) | instskip(SKIP_1) | instid1(VALU_DEP_3)
	v_lshlrev_b64_e32 v[26:27], 4, v[38:39]
	s_wait_alu 0xfffd
	v_add_co_ci_u32_e32 v25, vcc_lo, v9, v93, vcc_lo
	v_add_co_u32 v10, vcc_lo, v8, v10
	s_wait_alu 0xfffd
	v_add_co_ci_u32_e32 v11, vcc_lo, v9, v11, vcc_lo
	v_add_co_u32 v26, vcc_lo, v8, v26
	s_wait_alu 0xfffd
	v_add_co_ci_u32_e32 v27, vcc_lo, v9, v27, vcc_lo
	s_clause 0x13
	global_store_b128 v[8:9], v[60:63], off offset:25600
	global_store_b128 v[8:9], v[56:59], off offset:28160
	;; [unrolled: 1-line block ×6, first 2 shown]
	global_store_b128 v[8:9], v[88:91], off
	global_store_b128 v[8:9], v[28:31], off offset:2560
	global_store_b128 v[8:9], v[84:87], off offset:5120
	global_store_b128 v[8:9], v[80:83], off offset:7680
	global_store_b128 v[24:25], v[20:23], off offset:12800
	global_store_b128 v[10:11], v[76:79], off offset:15360
	global_store_b128 v[10:11], v[40:43], off offset:40960
	global_store_b128 v[8:9], v[12:15], off offset:10240
	global_store_b128 v[8:9], v[4:7], off offset:17920
	global_store_b128 v[8:9], v[32:35], off offset:43520
	global_store_b128 v[8:9], v[0:3], off offset:20480
	global_store_b128 v[8:9], v[68:71], off offset:46080
	global_store_b128 v[26:27], v[16:19], off offset:23040
	global_store_b128 v[26:27], v[72:75], off offset:48640
.LBB0_15:
	s_nop 0
	s_sendmsg sendmsg(MSG_DEALLOC_VGPRS)
	s_endpgm
	.section	.rodata,"a",@progbits
	.p2align	6, 0x0
	.amdhsa_kernel fft_rtc_back_len3200_factors_10_10_4_4_2_wgs_160_tpt_160_halfLds_dp_ip_CI_unitstride_sbrr_dirReg
		.amdhsa_group_segment_fixed_size 0
		.amdhsa_private_segment_fixed_size 0
		.amdhsa_kernarg_size 88
		.amdhsa_user_sgpr_count 2
		.amdhsa_user_sgpr_dispatch_ptr 0
		.amdhsa_user_sgpr_queue_ptr 0
		.amdhsa_user_sgpr_kernarg_segment_ptr 1
		.amdhsa_user_sgpr_dispatch_id 0
		.amdhsa_user_sgpr_private_segment_size 0
		.amdhsa_wavefront_size32 1
		.amdhsa_uses_dynamic_stack 0
		.amdhsa_enable_private_segment 0
		.amdhsa_system_sgpr_workgroup_id_x 1
		.amdhsa_system_sgpr_workgroup_id_y 0
		.amdhsa_system_sgpr_workgroup_id_z 0
		.amdhsa_system_sgpr_workgroup_info 0
		.amdhsa_system_vgpr_workitem_id 0
		.amdhsa_next_free_vgpr 172
		.amdhsa_next_free_sgpr 32
		.amdhsa_reserve_vcc 1
		.amdhsa_float_round_mode_32 0
		.amdhsa_float_round_mode_16_64 0
		.amdhsa_float_denorm_mode_32 3
		.amdhsa_float_denorm_mode_16_64 3
		.amdhsa_fp16_overflow 0
		.amdhsa_workgroup_processor_mode 1
		.amdhsa_memory_ordered 1
		.amdhsa_forward_progress 0
		.amdhsa_round_robin_scheduling 0
		.amdhsa_exception_fp_ieee_invalid_op 0
		.amdhsa_exception_fp_denorm_src 0
		.amdhsa_exception_fp_ieee_div_zero 0
		.amdhsa_exception_fp_ieee_overflow 0
		.amdhsa_exception_fp_ieee_underflow 0
		.amdhsa_exception_fp_ieee_inexact 0
		.amdhsa_exception_int_div_zero 0
	.end_amdhsa_kernel
	.text
.Lfunc_end0:
	.size	fft_rtc_back_len3200_factors_10_10_4_4_2_wgs_160_tpt_160_halfLds_dp_ip_CI_unitstride_sbrr_dirReg, .Lfunc_end0-fft_rtc_back_len3200_factors_10_10_4_4_2_wgs_160_tpt_160_halfLds_dp_ip_CI_unitstride_sbrr_dirReg
                                        ; -- End function
	.section	.AMDGPU.csdata,"",@progbits
; Kernel info:
; codeLenInByte = 13124
; NumSgprs: 34
; NumVgprs: 172
; ScratchSize: 0
; MemoryBound: 1
; FloatMode: 240
; IeeeMode: 1
; LDSByteSize: 0 bytes/workgroup (compile time only)
; SGPRBlocks: 4
; VGPRBlocks: 21
; NumSGPRsForWavesPerEU: 34
; NumVGPRsForWavesPerEU: 172
; Occupancy: 8
; WaveLimiterHint : 1
; COMPUTE_PGM_RSRC2:SCRATCH_EN: 0
; COMPUTE_PGM_RSRC2:USER_SGPR: 2
; COMPUTE_PGM_RSRC2:TRAP_HANDLER: 0
; COMPUTE_PGM_RSRC2:TGID_X_EN: 1
; COMPUTE_PGM_RSRC2:TGID_Y_EN: 0
; COMPUTE_PGM_RSRC2:TGID_Z_EN: 0
; COMPUTE_PGM_RSRC2:TIDIG_COMP_CNT: 0
	.text
	.p2alignl 7, 3214868480
	.fill 96, 4, 3214868480
	.type	__hip_cuid_ef0aa756d542c324,@object ; @__hip_cuid_ef0aa756d542c324
	.section	.bss,"aw",@nobits
	.globl	__hip_cuid_ef0aa756d542c324
__hip_cuid_ef0aa756d542c324:
	.byte	0                               ; 0x0
	.size	__hip_cuid_ef0aa756d542c324, 1

	.ident	"AMD clang version 19.0.0git (https://github.com/RadeonOpenCompute/llvm-project roc-6.4.0 25133 c7fe45cf4b819c5991fe208aaa96edf142730f1d)"
	.section	".note.GNU-stack","",@progbits
	.addrsig
	.addrsig_sym __hip_cuid_ef0aa756d542c324
	.amdgpu_metadata
---
amdhsa.kernels:
  - .args:
      - .actual_access:  read_only
        .address_space:  global
        .offset:         0
        .size:           8
        .value_kind:     global_buffer
      - .offset:         8
        .size:           8
        .value_kind:     by_value
      - .actual_access:  read_only
        .address_space:  global
        .offset:         16
        .size:           8
        .value_kind:     global_buffer
      - .actual_access:  read_only
        .address_space:  global
        .offset:         24
        .size:           8
        .value_kind:     global_buffer
      - .offset:         32
        .size:           8
        .value_kind:     by_value
      - .actual_access:  read_only
        .address_space:  global
        .offset:         40
        .size:           8
        .value_kind:     global_buffer
      - .actual_access:  read_only
        .address_space:  global
        .offset:         48
        .size:           8
        .value_kind:     global_buffer
      - .offset:         56
        .size:           4
        .value_kind:     by_value
      - .actual_access:  read_only
        .address_space:  global
        .offset:         64
        .size:           8
        .value_kind:     global_buffer
      - .actual_access:  read_only
        .address_space:  global
        .offset:         72
        .size:           8
        .value_kind:     global_buffer
      - .address_space:  global
        .offset:         80
        .size:           8
        .value_kind:     global_buffer
    .group_segment_fixed_size: 0
    .kernarg_segment_align: 8
    .kernarg_segment_size: 88
    .language:       OpenCL C
    .language_version:
      - 2
      - 0
    .max_flat_workgroup_size: 160
    .name:           fft_rtc_back_len3200_factors_10_10_4_4_2_wgs_160_tpt_160_halfLds_dp_ip_CI_unitstride_sbrr_dirReg
    .private_segment_fixed_size: 0
    .sgpr_count:     34
    .sgpr_spill_count: 0
    .symbol:         fft_rtc_back_len3200_factors_10_10_4_4_2_wgs_160_tpt_160_halfLds_dp_ip_CI_unitstride_sbrr_dirReg.kd
    .uniform_work_group_size: 1
    .uses_dynamic_stack: false
    .vgpr_count:     172
    .vgpr_spill_count: 0
    .wavefront_size: 32
    .workgroup_processor_mode: 1
amdhsa.target:   amdgcn-amd-amdhsa--gfx1201
amdhsa.version:
  - 1
  - 2
...

	.end_amdgpu_metadata
